;; amdgpu-corpus repo=ggml-org/llama.cpp kind=compiled arch=gfx1100 opt=O3
	.text
	.amdgcn_target "amdgcn-amd-amdhsa--gfx1100"
	.amdhsa_code_object_version 6
	.section	.text._ZL16k_get_rows_floatI6__halffEvPKT_PKiPT0_ll15HIP_vector_typeIjLj3EEmmmmmmmmm,"axG",@progbits,_ZL16k_get_rows_floatI6__halffEvPKT_PKiPT0_ll15HIP_vector_typeIjLj3EEmmmmmmmmm,comdat
	.globl	_ZL16k_get_rows_floatI6__halffEvPKT_PKiPT0_ll15HIP_vector_typeIjLj3EEmmmmmmmmm ; -- Begin function _ZL16k_get_rows_floatI6__halffEvPKT_PKiPT0_ll15HIP_vector_typeIjLj3EEmmmmmmmmm
	.p2align	8
	.type	_ZL16k_get_rows_floatI6__halffEvPKT_PKiPT0_ll15HIP_vector_typeIjLj3EEmmmmmmmmm,@function
_ZL16k_get_rows_floatI6__halffEvPKT_PKiPT0_ll15HIP_vector_typeIjLj3EEmmmmmmmmm: ; @_ZL16k_get_rows_floatI6__halffEvPKT_PKiPT0_ll15HIP_vector_typeIjLj3EEmmmmmmmmm
; %bb.0:
	s_clause 0x1
	s_load_b64 s[4:5], s[0:1], 0x20
	s_load_b64 s[34:35], s[0:1], 0x2c
	s_mov_b32 s2, s15
	s_mov_b32 s3, 0
	s_waitcnt lgkmcnt(0)
	s_mul_i32 s5, s35, s5
	s_mul_hi_u32 s6, s35, s4
	s_mul_i32 s36, s35, s4
	s_add_i32 s37, s6, s5
	s_delay_alu instid0(SALU_CYCLE_1) | instskip(NEXT) | instid1(VALU_DEP_1)
	v_cmp_le_i64_e64 s4, s[36:37], s[2:3]
	s_and_b32 vcc_lo, exec_lo, s4
	s_cbranch_vccnz .LBB0_6
; %bb.1:
	s_clause 0x4
	s_load_b64 s[38:39], s[0:1], 0x88
	s_load_b512 s[16:31], s[0:1], 0x38
	s_load_b64 s[40:41], s[0:1], 0x78
	s_load_b256 s[4:11], s[0:1], 0x0
	s_load_b32 s33, s[0:1], 0x28
	s_add_u32 s42, s0, 0x80
	s_addc_u32 s43, s1, 0
	s_ashr_i32 s1, s13, 31
	s_waitcnt lgkmcnt(0)
	s_and_b32 s39, s39, 0xffff
	s_mul_i32 s12, s13, s29
	s_mul_hi_u32 s15, s13, s28
	s_mul_i32 s29, s1, s28
	s_mul_i32 s44, s16, s1
	s_add_i32 s1, s15, s12
	v_mad_u64_u32 v[1:2], null, s14, s39, v[0:1]
	s_mul_i32 s0, s13, s28
	s_add_i32 s1, s1, s29
	v_mov_b32_e32 v2, 0
	s_lshl_b64 s[0:1], s[0:1], 2
	s_mul_hi_u32 s28, s16, s13
	s_mul_i32 s12, s16, s13
	s_add_u32 s16, s6, s0
	s_mul_i32 s45, s17, s13
	s_addc_u32 s17, s7, s1
	s_add_i32 s1, s28, s44
	v_lshlrev_b64 v[3:4], 2, v[1:2]
	s_add_i32 s13, s1, s45
	v_lshlrev_b64 v[5:6], 1, v[1:2]
	s_lshl_b64 s[6:7], s[12:13], 2
	v_cmp_gt_i64_e64 s0, s[10:11], v[1:2]
	s_add_u32 s1, s8, s6
	s_addc_u32 s6, s9, s7
	v_add_co_u32 v0, vcc_lo, s1, v3
	v_add_co_ci_u32_e32 v9, vcc_lo, s6, v4, vcc_lo
	v_add_co_u32 v10, vcc_lo, s4, v5
	v_add_co_ci_u32_e32 v11, vcc_lo, s5, v6, vcc_lo
	s_lshl_b64 s[4:5], s[18:19], 2
	s_lshl_b64 s[6:7], s[20:21], 2
	s_mov_b64 s[8:9], s[2:3]
	s_branch .LBB0_3
.LBB0_2:                                ;   in Loop: Header=BB0_3 Depth=1
	s_or_b32 exec_lo, exec_lo, s18
	s_add_u32 s8, s8, s38
	s_addc_u32 s9, s9, 0
	s_delay_alu instid0(SALU_CYCLE_1) | instskip(NEXT) | instid1(VALU_DEP_1)
	v_cmp_lt_i64_e64 s1, s[8:9], s[36:37]
	s_and_b32 vcc_lo, exec_lo, s1
	s_cbranch_vccz .LBB0_6
.LBB0_3:                                ; =>This Loop Header: Depth=1
                                        ;     Child Loop BB0_5 Depth 2
	s_and_saveexec_b32 s18, s0
	s_cbranch_execz .LBB0_2
; %bb.4:                                ;   in Loop: Header=BB0_3 Depth=1
	s_mul_hi_u32 s1, s8, s33
	v_dual_mov_b32 v8, v2 :: v_dual_mov_b32 v7, v1
	s_add_i32 s1, s1, s8
	s_delay_alu instid0(SALU_CYCLE_1) | instskip(NEXT) | instid1(SALU_CYCLE_1)
	s_lshr_b32 s1, s1, s34
	s_mul_i32 s2, s1, s35
	s_mul_i32 s12, s1, s31
	s_mul_hi_u32 s13, s1, s30
	s_ashr_i32 s19, s1, 31
	s_add_i32 s12, s13, s12
	s_mul_i32 s13, s19, s30
	s_sub_i32 s20, s8, s2
	s_add_i32 s13, s12, s13
	s_mul_i32 s2, s20, s41
	s_mul_hi_u32 s12, s20, s40
	s_ashr_i32 s21, s20, 31
	s_add_i32 s2, s12, s2
	s_mul_i32 s12, s1, s30
	s_mul_i32 s14, s21, s40
	s_lshl_b64 s[12:13], s[12:13], 2
	s_add_i32 s15, s2, s14
	s_mul_i32 s14, s20, s40
	s_add_u32 s2, s16, s12
	s_addc_u32 s28, s17, s13
	s_lshl_b64 s[12:13], s[14:15], 2
	s_mul_hi_u32 s14, s1, s24
	s_add_u32 s12, s2, s12
	s_addc_u32 s13, s28, s13
	s_load_b32 s2, s[42:43], 0x4
	s_load_b32 s12, s[12:13], 0x0
	s_mul_i32 s13, s1, s25
	s_mul_hi_u32 s28, s4, s1
	s_mul_i32 s44, s19, s24
	s_mul_i32 s19, s4, s19
	;; [unrolled: 1-line block ×3, first 2 shown]
	s_add_i32 s13, s14, s13
	s_add_i32 s14, s28, s19
	;; [unrolled: 1-line block ×4, first 2 shown]
	s_mul_i32 s15, s1, s24
	s_mul_i32 s1, s4, s1
	;; [unrolled: 1-line block ×3, first 2 shown]
	s_waitcnt lgkmcnt(0)
	s_mul_i32 s2, s2, s39
	s_mul_i32 s13, s12, s23
	s_mul_hi_u32 s28, s12, s22
	s_ashr_i32 s29, s12, 31
	s_add_i32 s13, s28, s13
	s_mul_i32 s29, s29, s22
	s_mul_i32 s28, s12, s22
	s_add_i32 s29, s13, s29
	s_mul_i32 s12, s6, s21
	s_mul_hi_u32 s13, s6, s20
	s_delay_alu instid0(SALU_CYCLE_1) | instskip(SKIP_1) | instid1(SALU_CYCLE_1)
	s_add_i32 s12, s13, s12
	s_mul_i32 s13, s7, s20
	s_add_i32 s12, s12, s13
	s_add_u32 s1, s1, s44
	s_addc_u32 s12, s14, s12
	v_add_co_u32 v3, vcc_lo, v0, s1
	v_add_co_ci_u32_e32 v4, vcc_lo, s12, v9, vcc_lo
	s_lshl_b64 s[12:13], s[2:3], 2
	s_add_u32 s1, s15, s28
	s_mul_i32 s14, s26, s21
	s_mul_hi_u32 s15, s26, s20
	s_addc_u32 s19, s19, s29
	s_add_i32 s14, s15, s14
	s_mul_i32 s15, s27, s20
	s_mul_i32 s20, s26, s20
	s_add_i32 s14, s14, s15
	s_add_u32 s1, s1, s20
	s_addc_u32 s14, s19, s14
	v_add_co_u32 v5, vcc_lo, v10, s1
	v_add_co_ci_u32_e32 v6, vcc_lo, s14, v11, vcc_lo
	s_lshl_b64 s[14:15], s[2:3], 1
	s_mov_b32 s19, 0
	.p2align	6
.LBB0_5:                                ;   Parent Loop BB0_3 Depth=1
                                        ; =>  This Inner Loop Header: Depth=2
	global_load_u16 v12, v[5:6], off
	v_add_co_u32 v7, vcc_lo, v7, s2
	v_add_co_ci_u32_e32 v8, vcc_lo, 0, v8, vcc_lo
	v_add_co_u32 v5, vcc_lo, v5, s14
	v_add_co_ci_u32_e32 v6, vcc_lo, s15, v6, vcc_lo
	s_delay_alu instid0(VALU_DEP_3)
	v_cmp_le_i64_e32 vcc_lo, s[10:11], v[7:8]
	s_or_b32 s19, vcc_lo, s19
	s_waitcnt vmcnt(0)
	v_cvt_f32_f16_e32 v12, v12
	global_store_b32 v[3:4], v12, off
	v_add_co_u32 v3, s1, v3, s12
	s_delay_alu instid0(VALU_DEP_1)
	v_add_co_ci_u32_e64 v4, s1, s13, v4, s1
	s_and_not1_b32 exec_lo, exec_lo, s19
	s_cbranch_execnz .LBB0_5
	s_branch .LBB0_2
.LBB0_6:
	s_nop 0
	s_sendmsg sendmsg(MSG_DEALLOC_VGPRS)
	s_endpgm
	.section	.rodata,"a",@progbits
	.p2align	6, 0x0
	.amdhsa_kernel _ZL16k_get_rows_floatI6__halffEvPKT_PKiPT0_ll15HIP_vector_typeIjLj3EEmmmmmmmmm
		.amdhsa_group_segment_fixed_size 0
		.amdhsa_private_segment_fixed_size 0
		.amdhsa_kernarg_size 384
		.amdhsa_user_sgpr_count 13
		.amdhsa_user_sgpr_dispatch_ptr 0
		.amdhsa_user_sgpr_queue_ptr 0
		.amdhsa_user_sgpr_kernarg_segment_ptr 1
		.amdhsa_user_sgpr_dispatch_id 0
		.amdhsa_user_sgpr_private_segment_size 0
		.amdhsa_wavefront_size32 1
		.amdhsa_uses_dynamic_stack 0
		.amdhsa_enable_private_segment 0
		.amdhsa_system_sgpr_workgroup_id_x 1
		.amdhsa_system_sgpr_workgroup_id_y 1
		.amdhsa_system_sgpr_workgroup_id_z 1
		.amdhsa_system_sgpr_workgroup_info 0
		.amdhsa_system_vgpr_workitem_id 0
		.amdhsa_next_free_vgpr 13
		.amdhsa_next_free_sgpr 46
		.amdhsa_reserve_vcc 1
		.amdhsa_float_round_mode_32 0
		.amdhsa_float_round_mode_16_64 0
		.amdhsa_float_denorm_mode_32 3
		.amdhsa_float_denorm_mode_16_64 3
		.amdhsa_dx10_clamp 1
		.amdhsa_ieee_mode 1
		.amdhsa_fp16_overflow 0
		.amdhsa_workgroup_processor_mode 1
		.amdhsa_memory_ordered 1
		.amdhsa_forward_progress 0
		.amdhsa_shared_vgpr_count 0
		.amdhsa_exception_fp_ieee_invalid_op 0
		.amdhsa_exception_fp_denorm_src 0
		.amdhsa_exception_fp_ieee_div_zero 0
		.amdhsa_exception_fp_ieee_overflow 0
		.amdhsa_exception_fp_ieee_underflow 0
		.amdhsa_exception_fp_ieee_inexact 0
		.amdhsa_exception_int_div_zero 0
	.end_amdhsa_kernel
	.section	.text._ZL16k_get_rows_floatI6__halffEvPKT_PKiPT0_ll15HIP_vector_typeIjLj3EEmmmmmmmmm,"axG",@progbits,_ZL16k_get_rows_floatI6__halffEvPKT_PKiPT0_ll15HIP_vector_typeIjLj3EEmmmmmmmmm,comdat
.Lfunc_end0:
	.size	_ZL16k_get_rows_floatI6__halffEvPKT_PKiPT0_ll15HIP_vector_typeIjLj3EEmmmmmmmmm, .Lfunc_end0-_ZL16k_get_rows_floatI6__halffEvPKT_PKiPT0_ll15HIP_vector_typeIjLj3EEmmmmmmmmm
                                        ; -- End function
	.section	.AMDGPU.csdata,"",@progbits
; Kernel info:
; codeLenInByte = 756
; NumSgprs: 48
; NumVgprs: 13
; ScratchSize: 0
; MemoryBound: 0
; FloatMode: 240
; IeeeMode: 1
; LDSByteSize: 0 bytes/workgroup (compile time only)
; SGPRBlocks: 5
; VGPRBlocks: 1
; NumSGPRsForWavesPerEU: 48
; NumVGPRsForWavesPerEU: 13
; Occupancy: 16
; WaveLimiterHint : 1
; COMPUTE_PGM_RSRC2:SCRATCH_EN: 0
; COMPUTE_PGM_RSRC2:USER_SGPR: 13
; COMPUTE_PGM_RSRC2:TRAP_HANDLER: 0
; COMPUTE_PGM_RSRC2:TGID_X_EN: 1
; COMPUTE_PGM_RSRC2:TGID_Y_EN: 1
; COMPUTE_PGM_RSRC2:TGID_Z_EN: 1
; COMPUTE_PGM_RSRC2:TIDIG_COMP_CNT: 0
	.section	.text._ZL16k_get_rows_floatIffEvPKT_PKiPT0_ll15HIP_vector_typeIjLj3EEmmmmmmmmm,"axG",@progbits,_ZL16k_get_rows_floatIffEvPKT_PKiPT0_ll15HIP_vector_typeIjLj3EEmmmmmmmmm,comdat
	.globl	_ZL16k_get_rows_floatIffEvPKT_PKiPT0_ll15HIP_vector_typeIjLj3EEmmmmmmmmm ; -- Begin function _ZL16k_get_rows_floatIffEvPKT_PKiPT0_ll15HIP_vector_typeIjLj3EEmmmmmmmmm
	.p2align	8
	.type	_ZL16k_get_rows_floatIffEvPKT_PKiPT0_ll15HIP_vector_typeIjLj3EEmmmmmmmmm,@function
_ZL16k_get_rows_floatIffEvPKT_PKiPT0_ll15HIP_vector_typeIjLj3EEmmmmmmmmm: ; @_ZL16k_get_rows_floatIffEvPKT_PKiPT0_ll15HIP_vector_typeIjLj3EEmmmmmmmmm
; %bb.0:
	s_clause 0x1
	s_load_b64 s[4:5], s[0:1], 0x20
	s_load_b64 s[34:35], s[0:1], 0x2c
	s_mov_b32 s2, s15
	s_mov_b32 s3, 0
	s_waitcnt lgkmcnt(0)
	s_mul_i32 s5, s35, s5
	s_mul_hi_u32 s6, s35, s4
	s_mul_i32 s36, s35, s4
	s_add_i32 s37, s6, s5
	s_delay_alu instid0(SALU_CYCLE_1) | instskip(NEXT) | instid1(VALU_DEP_1)
	v_cmp_le_i64_e64 s4, s[36:37], s[2:3]
	s_and_b32 vcc_lo, exec_lo, s4
	s_cbranch_vccnz .LBB1_6
; %bb.1:
	s_clause 0x4
	s_load_b64 s[38:39], s[0:1], 0x88
	s_load_b512 s[16:31], s[0:1], 0x38
	s_load_b256 s[4:11], s[0:1], 0x0
	s_load_b64 s[40:41], s[0:1], 0x78
	s_load_b32 s33, s[0:1], 0x28
	s_add_u32 s42, s0, 0x80
	s_addc_u32 s43, s1, 0
	s_ashr_i32 s1, s13, 31
	s_waitcnt lgkmcnt(0)
	s_and_b32 s39, s39, 0xffff
	s_mul_i32 s12, s13, s29
	s_mul_hi_u32 s15, s13, s28
	s_mul_i32 s29, s1, s28
	s_mul_i32 s45, s16, s1
	s_add_i32 s1, s15, s12
	v_mad_u64_u32 v[1:2], null, s14, s39, v[0:1]
	s_mul_i32 s0, s13, s28
	s_add_i32 s1, s1, s29
	v_mov_b32_e32 v2, 0
	s_lshl_b64 s[0:1], s[0:1], 2
	s_mul_hi_u32 s44, s16, s13
	s_mul_i32 s12, s17, s13
	s_add_u32 s17, s6, s0
	s_addc_u32 s28, s7, s1
	s_add_i32 s1, s44, s45
	s_mul_i32 s0, s16, s13
	s_add_i32 s1, s1, s12
	v_lshlrev_b64 v[3:4], 2, v[1:2]
	s_lshl_b64 s[6:7], s[0:1], 2
	v_cmp_gt_i64_e64 s0, s[10:11], v[1:2]
	s_add_u32 s1, s8, s6
	s_addc_u32 s6, s9, s7
	s_mov_b64 s[8:9], s[2:3]
	v_add_co_u32 v0, vcc_lo, s1, v3
	v_add_co_ci_u32_e32 v5, vcc_lo, s6, v4, vcc_lo
	v_add_co_u32 v6, vcc_lo, s4, v3
	v_add_co_ci_u32_e32 v7, vcc_lo, s5, v4, vcc_lo
	s_lshl_b64 s[4:5], s[18:19], 2
	s_lshl_b64 s[6:7], s[20:21], 2
	s_branch .LBB1_3
.LBB1_2:                                ;   in Loop: Header=BB1_3 Depth=1
	s_or_b32 exec_lo, exec_lo, s16
	s_add_u32 s8, s8, s38
	s_addc_u32 s9, s9, 0
	s_delay_alu instid0(SALU_CYCLE_1) | instskip(NEXT) | instid1(VALU_DEP_1)
	v_cmp_lt_i64_e64 s1, s[8:9], s[36:37]
	s_and_b32 vcc_lo, exec_lo, s1
	s_cbranch_vccz .LBB1_6
.LBB1_3:                                ; =>This Loop Header: Depth=1
                                        ;     Child Loop BB1_5 Depth 2
	s_and_saveexec_b32 s16, s0
	s_cbranch_execz .LBB1_2
; %bb.4:                                ;   in Loop: Header=BB1_3 Depth=1
	s_mul_hi_u32 s1, s8, s33
	v_dual_mov_b32 v4, v2 :: v_dual_mov_b32 v3, v1
	s_add_i32 s1, s1, s8
	s_delay_alu instid0(SALU_CYCLE_1) | instskip(NEXT) | instid1(SALU_CYCLE_1)
	s_lshr_b32 s1, s1, s34
	s_mul_i32 s2, s1, s35
	s_mul_i32 s12, s1, s31
	s_mul_hi_u32 s13, s1, s30
	s_ashr_i32 s18, s1, 31
	s_add_i32 s12, s13, s12
	s_mul_i32 s13, s18, s30
	s_sub_i32 s19, s8, s2
	s_add_i32 s13, s12, s13
	s_mul_i32 s2, s19, s41
	s_mul_hi_u32 s12, s19, s40
	s_ashr_i32 s20, s19, 31
	s_add_i32 s2, s12, s2
	s_mul_i32 s12, s1, s30
	s_mul_i32 s14, s20, s40
	s_lshl_b64 s[12:13], s[12:13], 2
	s_add_i32 s15, s2, s14
	s_mul_i32 s14, s19, s40
	s_add_u32 s2, s17, s12
	s_addc_u32 s21, s28, s13
	s_lshl_b64 s[12:13], s[14:15], 2
	s_mul_hi_u32 s14, s1, s24
	s_add_u32 s12, s2, s12
	s_addc_u32 s13, s21, s13
	s_load_b32 s2, s[42:43], 0x4
	s_load_b32 s12, s[12:13], 0x0
	s_mul_i32 s13, s1, s25
	s_mul_hi_u32 s21, s4, s1
	s_mul_i32 s44, s18, s24
	s_mul_i32 s18, s4, s18
	;; [unrolled: 1-line block ×3, first 2 shown]
	s_add_i32 s13, s14, s13
	s_add_i32 s14, s21, s18
	s_add_i32 s18, s13, s44
	s_add_i32 s14, s14, s29
	s_mul_i32 s15, s1, s24
	s_mul_i32 s1, s4, s1
	;; [unrolled: 1-line block ×3, first 2 shown]
	s_waitcnt lgkmcnt(0)
	s_mul_i32 s2, s2, s39
	s_mul_i32 s13, s12, s23
	s_mul_hi_u32 s21, s12, s22
	s_ashr_i32 s29, s12, 31
	s_add_i32 s13, s21, s13
	s_mul_i32 s29, s29, s22
	s_mul_i32 s21, s12, s22
	s_add_i32 s29, s13, s29
	s_mul_i32 s12, s6, s20
	s_mul_hi_u32 s13, s6, s19
	s_delay_alu instid0(SALU_CYCLE_1) | instskip(SKIP_1) | instid1(SALU_CYCLE_1)
	s_add_i32 s12, s13, s12
	s_mul_i32 s13, s7, s19
	s_add_i32 s12, s12, s13
	s_add_u32 s1, s1, s44
	s_addc_u32 s12, s14, s12
	v_add_co_u32 v8, vcc_lo, v0, s1
	v_add_co_ci_u32_e32 v9, vcc_lo, s12, v5, vcc_lo
	s_lshl_b64 s[12:13], s[2:3], 2
	s_add_u32 s1, s15, s21
	s_mul_i32 s14, s26, s20
	s_mul_hi_u32 s15, s26, s19
	s_addc_u32 s18, s18, s29
	s_add_i32 s14, s15, s14
	s_mul_i32 s15, s27, s19
	s_mul_i32 s19, s26, s19
	s_add_i32 s14, s14, s15
	s_add_u32 s1, s1, s19
	s_addc_u32 s14, s18, s14
	v_add_co_u32 v10, vcc_lo, v6, s1
	v_add_co_ci_u32_e32 v11, vcc_lo, s14, v7, vcc_lo
	s_mov_b64 s[14:15], 0
	s_mov_b32 s18, 0
	.p2align	6
.LBB1_5:                                ;   Parent Loop BB1_3 Depth=1
                                        ; =>  This Inner Loop Header: Depth=2
	s_delay_alu instid0(VALU_DEP_2) | instskip(NEXT) | instid1(VALU_DEP_2)
	v_add_co_u32 v12, vcc_lo, v10, s14
	v_add_co_ci_u32_e32 v13, vcc_lo, s15, v11, vcc_lo
	v_add_co_u32 v3, vcc_lo, v3, s2
	v_add_co_ci_u32_e32 v4, vcc_lo, 0, v4, vcc_lo
	global_load_b32 v14, v[12:13], off
	v_add_co_u32 v12, s1, v8, s14
	v_cmp_le_i64_e32 vcc_lo, s[10:11], v[3:4]
	v_add_co_ci_u32_e64 v13, s1, s15, v9, s1
	s_add_u32 s14, s14, s12
	s_addc_u32 s15, s15, s13
	s_or_b32 s18, vcc_lo, s18
	s_waitcnt vmcnt(0)
	global_store_b32 v[12:13], v14, off
	s_and_not1_b32 exec_lo, exec_lo, s18
	s_cbranch_execnz .LBB1_5
	s_branch .LBB1_2
.LBB1_6:
	s_nop 0
	s_sendmsg sendmsg(MSG_DEALLOC_VGPRS)
	s_endpgm
	.section	.rodata,"a",@progbits
	.p2align	6, 0x0
	.amdhsa_kernel _ZL16k_get_rows_floatIffEvPKT_PKiPT0_ll15HIP_vector_typeIjLj3EEmmmmmmmmm
		.amdhsa_group_segment_fixed_size 0
		.amdhsa_private_segment_fixed_size 0
		.amdhsa_kernarg_size 384
		.amdhsa_user_sgpr_count 13
		.amdhsa_user_sgpr_dispatch_ptr 0
		.amdhsa_user_sgpr_queue_ptr 0
		.amdhsa_user_sgpr_kernarg_segment_ptr 1
		.amdhsa_user_sgpr_dispatch_id 0
		.amdhsa_user_sgpr_private_segment_size 0
		.amdhsa_wavefront_size32 1
		.amdhsa_uses_dynamic_stack 0
		.amdhsa_enable_private_segment 0
		.amdhsa_system_sgpr_workgroup_id_x 1
		.amdhsa_system_sgpr_workgroup_id_y 1
		.amdhsa_system_sgpr_workgroup_id_z 1
		.amdhsa_system_sgpr_workgroup_info 0
		.amdhsa_system_vgpr_workitem_id 0
		.amdhsa_next_free_vgpr 15
		.amdhsa_next_free_sgpr 46
		.amdhsa_reserve_vcc 1
		.amdhsa_float_round_mode_32 0
		.amdhsa_float_round_mode_16_64 0
		.amdhsa_float_denorm_mode_32 3
		.amdhsa_float_denorm_mode_16_64 3
		.amdhsa_dx10_clamp 1
		.amdhsa_ieee_mode 1
		.amdhsa_fp16_overflow 0
		.amdhsa_workgroup_processor_mode 1
		.amdhsa_memory_ordered 1
		.amdhsa_forward_progress 0
		.amdhsa_shared_vgpr_count 0
		.amdhsa_exception_fp_ieee_invalid_op 0
		.amdhsa_exception_fp_denorm_src 0
		.amdhsa_exception_fp_ieee_div_zero 0
		.amdhsa_exception_fp_ieee_overflow 0
		.amdhsa_exception_fp_ieee_underflow 0
		.amdhsa_exception_fp_ieee_inexact 0
		.amdhsa_exception_int_div_zero 0
	.end_amdhsa_kernel
	.section	.text._ZL16k_get_rows_floatIffEvPKT_PKiPT0_ll15HIP_vector_typeIjLj3EEmmmmmmmmm,"axG",@progbits,_ZL16k_get_rows_floatIffEvPKT_PKiPT0_ll15HIP_vector_typeIjLj3EEmmmmmmmmm,comdat
.Lfunc_end1:
	.size	_ZL16k_get_rows_floatIffEvPKT_PKiPT0_ll15HIP_vector_typeIjLj3EEmmmmmmmmm, .Lfunc_end1-_ZL16k_get_rows_floatIffEvPKT_PKiPT0_ll15HIP_vector_typeIjLj3EEmmmmmmmmm
                                        ; -- End function
	.section	.AMDGPU.csdata,"",@progbits
; Kernel info:
; codeLenInByte = 748
; NumSgprs: 48
; NumVgprs: 15
; ScratchSize: 0
; MemoryBound: 0
; FloatMode: 240
; IeeeMode: 1
; LDSByteSize: 0 bytes/workgroup (compile time only)
; SGPRBlocks: 5
; VGPRBlocks: 1
; NumSGPRsForWavesPerEU: 48
; NumVGPRsForWavesPerEU: 15
; Occupancy: 16
; WaveLimiterHint : 1
; COMPUTE_PGM_RSRC2:SCRATCH_EN: 0
; COMPUTE_PGM_RSRC2:USER_SGPR: 13
; COMPUTE_PGM_RSRC2:TRAP_HANDLER: 0
; COMPUTE_PGM_RSRC2:TGID_X_EN: 1
; COMPUTE_PGM_RSRC2:TGID_Y_EN: 1
; COMPUTE_PGM_RSRC2:TGID_Z_EN: 1
; COMPUTE_PGM_RSRC2:TIDIG_COMP_CNT: 0
	.section	.text._ZL16k_get_rows_floatIifEvPKT_PKiPT0_ll15HIP_vector_typeIjLj3EEmmmmmmmmm,"axG",@progbits,_ZL16k_get_rows_floatIifEvPKT_PKiPT0_ll15HIP_vector_typeIjLj3EEmmmmmmmmm,comdat
	.globl	_ZL16k_get_rows_floatIifEvPKT_PKiPT0_ll15HIP_vector_typeIjLj3EEmmmmmmmmm ; -- Begin function _ZL16k_get_rows_floatIifEvPKT_PKiPT0_ll15HIP_vector_typeIjLj3EEmmmmmmmmm
	.p2align	8
	.type	_ZL16k_get_rows_floatIifEvPKT_PKiPT0_ll15HIP_vector_typeIjLj3EEmmmmmmmmm,@function
_ZL16k_get_rows_floatIifEvPKT_PKiPT0_ll15HIP_vector_typeIjLj3EEmmmmmmmmm: ; @_ZL16k_get_rows_floatIifEvPKT_PKiPT0_ll15HIP_vector_typeIjLj3EEmmmmmmmmm
; %bb.0:
	s_clause 0x1
	s_load_b64 s[4:5], s[0:1], 0x20
	s_load_b64 s[34:35], s[0:1], 0x2c
	s_mov_b32 s2, s15
	s_mov_b32 s3, 0
	s_waitcnt lgkmcnt(0)
	s_mul_i32 s5, s35, s5
	s_mul_hi_u32 s6, s35, s4
	s_mul_i32 s36, s35, s4
	s_add_i32 s37, s6, s5
	s_delay_alu instid0(SALU_CYCLE_1) | instskip(NEXT) | instid1(VALU_DEP_1)
	v_cmp_le_i64_e64 s4, s[36:37], s[2:3]
	s_and_b32 vcc_lo, exec_lo, s4
	s_cbranch_vccnz .LBB2_6
; %bb.1:
	s_clause 0x4
	s_load_b64 s[38:39], s[0:1], 0x88
	s_load_b512 s[16:31], s[0:1], 0x38
	s_load_b256 s[4:11], s[0:1], 0x0
	s_load_b64 s[40:41], s[0:1], 0x78
	s_load_b32 s33, s[0:1], 0x28
	s_add_u32 s42, s0, 0x80
	s_addc_u32 s43, s1, 0
	s_ashr_i32 s1, s13, 31
	s_waitcnt lgkmcnt(0)
	s_and_b32 s39, s39, 0xffff
	s_mul_i32 s12, s13, s29
	s_mul_hi_u32 s15, s13, s28
	s_mul_i32 s29, s1, s28
	s_mul_i32 s45, s16, s1
	s_add_i32 s1, s15, s12
	v_mad_u64_u32 v[1:2], null, s14, s39, v[0:1]
	s_mul_i32 s0, s13, s28
	s_add_i32 s1, s1, s29
	v_mov_b32_e32 v2, 0
	s_lshl_b64 s[0:1], s[0:1], 2
	s_mul_hi_u32 s44, s16, s13
	s_mul_i32 s12, s17, s13
	s_add_u32 s17, s6, s0
	s_addc_u32 s28, s7, s1
	s_add_i32 s1, s44, s45
	s_mul_i32 s0, s16, s13
	s_add_i32 s1, s1, s12
	v_lshlrev_b64 v[3:4], 2, v[1:2]
	s_lshl_b64 s[6:7], s[0:1], 2
	v_cmp_gt_i64_e64 s0, s[10:11], v[1:2]
	s_add_u32 s1, s8, s6
	s_addc_u32 s6, s9, s7
	s_mov_b64 s[8:9], s[2:3]
	v_add_co_u32 v0, vcc_lo, s1, v3
	v_add_co_ci_u32_e32 v5, vcc_lo, s6, v4, vcc_lo
	v_add_co_u32 v6, vcc_lo, s4, v3
	v_add_co_ci_u32_e32 v7, vcc_lo, s5, v4, vcc_lo
	s_lshl_b64 s[4:5], s[18:19], 2
	s_lshl_b64 s[6:7], s[20:21], 2
	s_branch .LBB2_3
.LBB2_2:                                ;   in Loop: Header=BB2_3 Depth=1
	s_or_b32 exec_lo, exec_lo, s16
	s_add_u32 s8, s8, s38
	s_addc_u32 s9, s9, 0
	s_delay_alu instid0(SALU_CYCLE_1) | instskip(NEXT) | instid1(VALU_DEP_1)
	v_cmp_lt_i64_e64 s1, s[8:9], s[36:37]
	s_and_b32 vcc_lo, exec_lo, s1
	s_cbranch_vccz .LBB2_6
.LBB2_3:                                ; =>This Loop Header: Depth=1
                                        ;     Child Loop BB2_5 Depth 2
	s_and_saveexec_b32 s16, s0
	s_cbranch_execz .LBB2_2
; %bb.4:                                ;   in Loop: Header=BB2_3 Depth=1
	s_mul_hi_u32 s1, s8, s33
	v_dual_mov_b32 v4, v2 :: v_dual_mov_b32 v3, v1
	s_add_i32 s1, s1, s8
	s_delay_alu instid0(SALU_CYCLE_1) | instskip(NEXT) | instid1(SALU_CYCLE_1)
	s_lshr_b32 s1, s1, s34
	s_mul_i32 s2, s1, s35
	s_mul_i32 s12, s1, s31
	s_mul_hi_u32 s13, s1, s30
	s_ashr_i32 s18, s1, 31
	s_add_i32 s12, s13, s12
	s_mul_i32 s13, s18, s30
	s_sub_i32 s19, s8, s2
	s_add_i32 s13, s12, s13
	s_mul_i32 s2, s19, s41
	s_mul_hi_u32 s12, s19, s40
	s_ashr_i32 s20, s19, 31
	s_add_i32 s2, s12, s2
	s_mul_i32 s12, s1, s30
	s_mul_i32 s14, s20, s40
	s_lshl_b64 s[12:13], s[12:13], 2
	s_add_i32 s15, s2, s14
	s_mul_i32 s14, s19, s40
	s_add_u32 s2, s17, s12
	s_addc_u32 s21, s28, s13
	s_lshl_b64 s[12:13], s[14:15], 2
	s_mul_hi_u32 s14, s1, s24
	s_add_u32 s12, s2, s12
	s_addc_u32 s13, s21, s13
	s_load_b32 s2, s[42:43], 0x4
	s_load_b32 s12, s[12:13], 0x0
	s_mul_i32 s13, s1, s25
	s_mul_hi_u32 s21, s4, s1
	s_mul_i32 s44, s18, s24
	s_mul_i32 s18, s4, s18
	;; [unrolled: 1-line block ×3, first 2 shown]
	s_add_i32 s13, s14, s13
	s_add_i32 s14, s21, s18
	;; [unrolled: 1-line block ×4, first 2 shown]
	s_mul_i32 s15, s1, s24
	s_mul_i32 s1, s4, s1
	;; [unrolled: 1-line block ×3, first 2 shown]
	s_waitcnt lgkmcnt(0)
	s_mul_i32 s2, s2, s39
	s_mul_i32 s13, s12, s23
	s_mul_hi_u32 s21, s12, s22
	s_ashr_i32 s29, s12, 31
	s_add_i32 s13, s21, s13
	s_mul_i32 s29, s29, s22
	s_mul_i32 s21, s12, s22
	s_add_i32 s29, s13, s29
	s_mul_i32 s12, s6, s20
	s_mul_hi_u32 s13, s6, s19
	s_delay_alu instid0(SALU_CYCLE_1) | instskip(SKIP_1) | instid1(SALU_CYCLE_1)
	s_add_i32 s12, s13, s12
	s_mul_i32 s13, s7, s19
	s_add_i32 s12, s12, s13
	s_add_u32 s1, s1, s44
	s_addc_u32 s12, s14, s12
	v_add_co_u32 v8, vcc_lo, v0, s1
	v_add_co_ci_u32_e32 v9, vcc_lo, s12, v5, vcc_lo
	s_lshl_b64 s[12:13], s[2:3], 2
	s_add_u32 s1, s15, s21
	s_mul_i32 s14, s26, s20
	s_mul_hi_u32 s15, s26, s19
	s_addc_u32 s18, s18, s29
	s_add_i32 s14, s15, s14
	s_mul_i32 s15, s27, s19
	s_mul_i32 s19, s26, s19
	s_add_i32 s14, s14, s15
	s_add_u32 s1, s1, s19
	s_addc_u32 s14, s18, s14
	v_add_co_u32 v10, vcc_lo, v6, s1
	v_add_co_ci_u32_e32 v11, vcc_lo, s14, v7, vcc_lo
	s_mov_b64 s[14:15], 0
	s_mov_b32 s18, 0
	.p2align	6
.LBB2_5:                                ;   Parent Loop BB2_3 Depth=1
                                        ; =>  This Inner Loop Header: Depth=2
	s_delay_alu instid0(VALU_DEP_2) | instskip(NEXT) | instid1(VALU_DEP_2)
	v_add_co_u32 v12, vcc_lo, v10, s14
	v_add_co_ci_u32_e32 v13, vcc_lo, s15, v11, vcc_lo
	v_add_co_u32 v3, vcc_lo, v3, s2
	v_add_co_ci_u32_e32 v4, vcc_lo, 0, v4, vcc_lo
	global_load_b32 v14, v[12:13], off
	v_add_co_u32 v12, vcc_lo, v8, s14
	v_cmp_le_i64_e64 s1, s[10:11], v[3:4]
	v_add_co_ci_u32_e32 v13, vcc_lo, s15, v9, vcc_lo
	s_add_u32 s14, s14, s12
	s_addc_u32 s15, s15, s13
	s_delay_alu instid0(VALU_DEP_2)
	s_or_b32 s18, s1, s18
	s_waitcnt vmcnt(0)
	v_cvt_f32_i32_e32 v14, v14
	global_store_b32 v[12:13], v14, off
	s_and_not1_b32 exec_lo, exec_lo, s18
	s_cbranch_execnz .LBB2_5
	s_branch .LBB2_2
.LBB2_6:
	s_nop 0
	s_sendmsg sendmsg(MSG_DEALLOC_VGPRS)
	s_endpgm
	.section	.rodata,"a",@progbits
	.p2align	6, 0x0
	.amdhsa_kernel _ZL16k_get_rows_floatIifEvPKT_PKiPT0_ll15HIP_vector_typeIjLj3EEmmmmmmmmm
		.amdhsa_group_segment_fixed_size 0
		.amdhsa_private_segment_fixed_size 0
		.amdhsa_kernarg_size 384
		.amdhsa_user_sgpr_count 13
		.amdhsa_user_sgpr_dispatch_ptr 0
		.amdhsa_user_sgpr_queue_ptr 0
		.amdhsa_user_sgpr_kernarg_segment_ptr 1
		.amdhsa_user_sgpr_dispatch_id 0
		.amdhsa_user_sgpr_private_segment_size 0
		.amdhsa_wavefront_size32 1
		.amdhsa_uses_dynamic_stack 0
		.amdhsa_enable_private_segment 0
		.amdhsa_system_sgpr_workgroup_id_x 1
		.amdhsa_system_sgpr_workgroup_id_y 1
		.amdhsa_system_sgpr_workgroup_id_z 1
		.amdhsa_system_sgpr_workgroup_info 0
		.amdhsa_system_vgpr_workitem_id 0
		.amdhsa_next_free_vgpr 15
		.amdhsa_next_free_sgpr 46
		.amdhsa_reserve_vcc 1
		.amdhsa_float_round_mode_32 0
		.amdhsa_float_round_mode_16_64 0
		.amdhsa_float_denorm_mode_32 3
		.amdhsa_float_denorm_mode_16_64 3
		.amdhsa_dx10_clamp 1
		.amdhsa_ieee_mode 1
		.amdhsa_fp16_overflow 0
		.amdhsa_workgroup_processor_mode 1
		.amdhsa_memory_ordered 1
		.amdhsa_forward_progress 0
		.amdhsa_shared_vgpr_count 0
		.amdhsa_exception_fp_ieee_invalid_op 0
		.amdhsa_exception_fp_denorm_src 0
		.amdhsa_exception_fp_ieee_div_zero 0
		.amdhsa_exception_fp_ieee_overflow 0
		.amdhsa_exception_fp_ieee_underflow 0
		.amdhsa_exception_fp_ieee_inexact 0
		.amdhsa_exception_int_div_zero 0
	.end_amdhsa_kernel
	.section	.text._ZL16k_get_rows_floatIifEvPKT_PKiPT0_ll15HIP_vector_typeIjLj3EEmmmmmmmmm,"axG",@progbits,_ZL16k_get_rows_floatIifEvPKT_PKiPT0_ll15HIP_vector_typeIjLj3EEmmmmmmmmm,comdat
.Lfunc_end2:
	.size	_ZL16k_get_rows_floatIifEvPKT_PKiPT0_ll15HIP_vector_typeIjLj3EEmmmmmmmmm, .Lfunc_end2-_ZL16k_get_rows_floatIifEvPKT_PKiPT0_ll15HIP_vector_typeIjLj3EEmmmmmmmmm
                                        ; -- End function
	.section	.AMDGPU.csdata,"",@progbits
; Kernel info:
; codeLenInByte = 756
; NumSgprs: 48
; NumVgprs: 15
; ScratchSize: 0
; MemoryBound: 0
; FloatMode: 240
; IeeeMode: 1
; LDSByteSize: 0 bytes/workgroup (compile time only)
; SGPRBlocks: 5
; VGPRBlocks: 1
; NumSGPRsForWavesPerEU: 48
; NumVGPRsForWavesPerEU: 15
; Occupancy: 16
; WaveLimiterHint : 1
; COMPUTE_PGM_RSRC2:SCRATCH_EN: 0
; COMPUTE_PGM_RSRC2:USER_SGPR: 13
; COMPUTE_PGM_RSRC2:TRAP_HANDLER: 0
; COMPUTE_PGM_RSRC2:TGID_X_EN: 1
; COMPUTE_PGM_RSRC2:TGID_Y_EN: 1
; COMPUTE_PGM_RSRC2:TGID_Z_EN: 1
; COMPUTE_PGM_RSRC2:TIDIG_COMP_CNT: 0
	.section	.text._ZL16k_get_rows_floatI14__hip_bfloat16fEvPKT_PKiPT0_ll15HIP_vector_typeIjLj3EEmmmmmmmmm,"axG",@progbits,_ZL16k_get_rows_floatI14__hip_bfloat16fEvPKT_PKiPT0_ll15HIP_vector_typeIjLj3EEmmmmmmmmm,comdat
	.globl	_ZL16k_get_rows_floatI14__hip_bfloat16fEvPKT_PKiPT0_ll15HIP_vector_typeIjLj3EEmmmmmmmmm ; -- Begin function _ZL16k_get_rows_floatI14__hip_bfloat16fEvPKT_PKiPT0_ll15HIP_vector_typeIjLj3EEmmmmmmmmm
	.p2align	8
	.type	_ZL16k_get_rows_floatI14__hip_bfloat16fEvPKT_PKiPT0_ll15HIP_vector_typeIjLj3EEmmmmmmmmm,@function
_ZL16k_get_rows_floatI14__hip_bfloat16fEvPKT_PKiPT0_ll15HIP_vector_typeIjLj3EEmmmmmmmmm: ; @_ZL16k_get_rows_floatI14__hip_bfloat16fEvPKT_PKiPT0_ll15HIP_vector_typeIjLj3EEmmmmmmmmm
; %bb.0:
	s_clause 0x1
	s_load_b64 s[4:5], s[0:1], 0x20
	s_load_b64 s[34:35], s[0:1], 0x2c
	s_mov_b32 s2, s15
	s_mov_b32 s3, 0
	s_waitcnt lgkmcnt(0)
	s_mul_i32 s5, s35, s5
	s_mul_hi_u32 s6, s35, s4
	s_mul_i32 s36, s35, s4
	s_add_i32 s37, s6, s5
	s_delay_alu instid0(SALU_CYCLE_1) | instskip(NEXT) | instid1(VALU_DEP_1)
	v_cmp_le_i64_e64 s4, s[36:37], s[2:3]
	s_and_b32 vcc_lo, exec_lo, s4
	s_cbranch_vccnz .LBB3_6
; %bb.1:
	s_clause 0x4
	s_load_b64 s[38:39], s[0:1], 0x88
	s_load_b512 s[16:31], s[0:1], 0x38
	s_load_b64 s[40:41], s[0:1], 0x78
	s_load_b256 s[4:11], s[0:1], 0x0
	s_load_b32 s33, s[0:1], 0x28
	s_add_u32 s42, s0, 0x80
	s_addc_u32 s43, s1, 0
	s_ashr_i32 s1, s13, 31
	s_waitcnt lgkmcnt(0)
	s_and_b32 s39, s39, 0xffff
	s_mul_i32 s12, s13, s29
	s_mul_hi_u32 s15, s13, s28
	s_mul_i32 s29, s1, s28
	s_mul_i32 s44, s16, s1
	s_add_i32 s1, s15, s12
	v_mad_u64_u32 v[1:2], null, s14, s39, v[0:1]
	s_mul_i32 s0, s13, s28
	s_add_i32 s1, s1, s29
	v_mov_b32_e32 v2, 0
	s_lshl_b64 s[0:1], s[0:1], 2
	s_mul_hi_u32 s28, s16, s13
	s_mul_i32 s12, s16, s13
	s_add_u32 s16, s6, s0
	s_mul_i32 s45, s17, s13
	s_addc_u32 s17, s7, s1
	s_add_i32 s1, s28, s44
	v_lshlrev_b64 v[3:4], 2, v[1:2]
	s_add_i32 s13, s1, s45
	v_lshlrev_b64 v[5:6], 1, v[1:2]
	s_lshl_b64 s[6:7], s[12:13], 2
	v_cmp_gt_i64_e64 s0, s[10:11], v[1:2]
	s_add_u32 s1, s8, s6
	s_addc_u32 s6, s9, s7
	v_add_co_u32 v0, vcc_lo, s1, v3
	v_add_co_ci_u32_e32 v9, vcc_lo, s6, v4, vcc_lo
	v_add_co_u32 v10, vcc_lo, s4, v5
	v_add_co_ci_u32_e32 v11, vcc_lo, s5, v6, vcc_lo
	s_lshl_b64 s[4:5], s[18:19], 2
	s_lshl_b64 s[6:7], s[20:21], 2
	s_mov_b64 s[8:9], s[2:3]
	s_branch .LBB3_3
.LBB3_2:                                ;   in Loop: Header=BB3_3 Depth=1
	s_or_b32 exec_lo, exec_lo, s18
	s_add_u32 s8, s8, s38
	s_addc_u32 s9, s9, 0
	s_delay_alu instid0(SALU_CYCLE_1) | instskip(NEXT) | instid1(VALU_DEP_1)
	v_cmp_lt_i64_e64 s1, s[8:9], s[36:37]
	s_and_b32 vcc_lo, exec_lo, s1
	s_cbranch_vccz .LBB3_6
.LBB3_3:                                ; =>This Loop Header: Depth=1
                                        ;     Child Loop BB3_5 Depth 2
	s_and_saveexec_b32 s18, s0
	s_cbranch_execz .LBB3_2
; %bb.4:                                ;   in Loop: Header=BB3_3 Depth=1
	s_mul_hi_u32 s1, s8, s33
	v_dual_mov_b32 v8, v2 :: v_dual_mov_b32 v7, v1
	s_add_i32 s1, s1, s8
	s_delay_alu instid0(SALU_CYCLE_1) | instskip(NEXT) | instid1(SALU_CYCLE_1)
	s_lshr_b32 s1, s1, s34
	s_mul_i32 s2, s1, s35
	s_mul_i32 s12, s1, s31
	s_mul_hi_u32 s13, s1, s30
	s_ashr_i32 s19, s1, 31
	s_add_i32 s12, s13, s12
	s_mul_i32 s13, s19, s30
	s_sub_i32 s20, s8, s2
	s_add_i32 s13, s12, s13
	s_mul_i32 s2, s20, s41
	s_mul_hi_u32 s12, s20, s40
	s_ashr_i32 s21, s20, 31
	s_add_i32 s2, s12, s2
	s_mul_i32 s12, s1, s30
	s_mul_i32 s14, s21, s40
	s_lshl_b64 s[12:13], s[12:13], 2
	s_add_i32 s15, s2, s14
	s_mul_i32 s14, s20, s40
	s_add_u32 s2, s16, s12
	s_addc_u32 s28, s17, s13
	s_lshl_b64 s[12:13], s[14:15], 2
	s_mul_hi_u32 s14, s1, s24
	s_add_u32 s12, s2, s12
	s_addc_u32 s13, s28, s13
	s_load_b32 s2, s[42:43], 0x4
	s_load_b32 s12, s[12:13], 0x0
	s_mul_i32 s13, s1, s25
	s_mul_hi_u32 s28, s4, s1
	s_mul_i32 s44, s19, s24
	s_mul_i32 s19, s4, s19
	;; [unrolled: 1-line block ×3, first 2 shown]
	s_add_i32 s13, s14, s13
	s_add_i32 s14, s28, s19
	;; [unrolled: 1-line block ×4, first 2 shown]
	s_mul_i32 s15, s1, s24
	s_mul_i32 s1, s4, s1
	;; [unrolled: 1-line block ×3, first 2 shown]
	s_waitcnt lgkmcnt(0)
	s_mul_i32 s2, s2, s39
	s_mul_i32 s13, s12, s23
	s_mul_hi_u32 s28, s12, s22
	s_ashr_i32 s29, s12, 31
	s_add_i32 s13, s28, s13
	s_mul_i32 s29, s29, s22
	s_mul_i32 s28, s12, s22
	s_add_i32 s29, s13, s29
	s_mul_i32 s12, s6, s21
	s_mul_hi_u32 s13, s6, s20
	s_delay_alu instid0(SALU_CYCLE_1) | instskip(SKIP_1) | instid1(SALU_CYCLE_1)
	s_add_i32 s12, s13, s12
	s_mul_i32 s13, s7, s20
	s_add_i32 s12, s12, s13
	s_add_u32 s1, s1, s44
	s_addc_u32 s12, s14, s12
	v_add_co_u32 v3, vcc_lo, v0, s1
	v_add_co_ci_u32_e32 v4, vcc_lo, s12, v9, vcc_lo
	s_lshl_b64 s[12:13], s[2:3], 2
	s_add_u32 s1, s15, s28
	s_mul_i32 s14, s26, s21
	s_mul_hi_u32 s15, s26, s20
	s_addc_u32 s19, s19, s29
	s_add_i32 s14, s15, s14
	s_mul_i32 s15, s27, s20
	s_mul_i32 s20, s26, s20
	s_add_i32 s14, s14, s15
	s_add_u32 s1, s1, s20
	s_addc_u32 s14, s19, s14
	v_add_co_u32 v5, vcc_lo, v10, s1
	v_add_co_ci_u32_e32 v6, vcc_lo, s14, v11, vcc_lo
	s_lshl_b64 s[14:15], s[2:3], 1
	s_mov_b32 s19, 0
	.p2align	6
.LBB3_5:                                ;   Parent Loop BB3_3 Depth=1
                                        ; =>  This Inner Loop Header: Depth=2
	global_load_u16 v12, v[5:6], off
	v_add_co_u32 v7, vcc_lo, v7, s2
	v_add_co_ci_u32_e32 v8, vcc_lo, 0, v8, vcc_lo
	v_add_co_u32 v5, vcc_lo, v5, s14
	v_add_co_ci_u32_e32 v6, vcc_lo, s15, v6, vcc_lo
	s_delay_alu instid0(VALU_DEP_3)
	v_cmp_le_i64_e32 vcc_lo, s[10:11], v[7:8]
	s_or_b32 s19, vcc_lo, s19
	s_waitcnt vmcnt(0)
	v_lshlrev_b32_e32 v12, 16, v12
	global_store_b32 v[3:4], v12, off
	v_add_co_u32 v3, s1, v3, s12
	s_delay_alu instid0(VALU_DEP_1)
	v_add_co_ci_u32_e64 v4, s1, s13, v4, s1
	s_and_not1_b32 exec_lo, exec_lo, s19
	s_cbranch_execnz .LBB3_5
	s_branch .LBB3_2
.LBB3_6:
	s_nop 0
	s_sendmsg sendmsg(MSG_DEALLOC_VGPRS)
	s_endpgm
	.section	.rodata,"a",@progbits
	.p2align	6, 0x0
	.amdhsa_kernel _ZL16k_get_rows_floatI14__hip_bfloat16fEvPKT_PKiPT0_ll15HIP_vector_typeIjLj3EEmmmmmmmmm
		.amdhsa_group_segment_fixed_size 0
		.amdhsa_private_segment_fixed_size 0
		.amdhsa_kernarg_size 384
		.amdhsa_user_sgpr_count 13
		.amdhsa_user_sgpr_dispatch_ptr 0
		.amdhsa_user_sgpr_queue_ptr 0
		.amdhsa_user_sgpr_kernarg_segment_ptr 1
		.amdhsa_user_sgpr_dispatch_id 0
		.amdhsa_user_sgpr_private_segment_size 0
		.amdhsa_wavefront_size32 1
		.amdhsa_uses_dynamic_stack 0
		.amdhsa_enable_private_segment 0
		.amdhsa_system_sgpr_workgroup_id_x 1
		.amdhsa_system_sgpr_workgroup_id_y 1
		.amdhsa_system_sgpr_workgroup_id_z 1
		.amdhsa_system_sgpr_workgroup_info 0
		.amdhsa_system_vgpr_workitem_id 0
		.amdhsa_next_free_vgpr 13
		.amdhsa_next_free_sgpr 46
		.amdhsa_reserve_vcc 1
		.amdhsa_float_round_mode_32 0
		.amdhsa_float_round_mode_16_64 0
		.amdhsa_float_denorm_mode_32 3
		.amdhsa_float_denorm_mode_16_64 3
		.amdhsa_dx10_clamp 1
		.amdhsa_ieee_mode 1
		.amdhsa_fp16_overflow 0
		.amdhsa_workgroup_processor_mode 1
		.amdhsa_memory_ordered 1
		.amdhsa_forward_progress 0
		.amdhsa_shared_vgpr_count 0
		.amdhsa_exception_fp_ieee_invalid_op 0
		.amdhsa_exception_fp_denorm_src 0
		.amdhsa_exception_fp_ieee_div_zero 0
		.amdhsa_exception_fp_ieee_overflow 0
		.amdhsa_exception_fp_ieee_underflow 0
		.amdhsa_exception_fp_ieee_inexact 0
		.amdhsa_exception_int_div_zero 0
	.end_amdhsa_kernel
	.section	.text._ZL16k_get_rows_floatI14__hip_bfloat16fEvPKT_PKiPT0_ll15HIP_vector_typeIjLj3EEmmmmmmmmm,"axG",@progbits,_ZL16k_get_rows_floatI14__hip_bfloat16fEvPKT_PKiPT0_ll15HIP_vector_typeIjLj3EEmmmmmmmmm,comdat
.Lfunc_end3:
	.size	_ZL16k_get_rows_floatI14__hip_bfloat16fEvPKT_PKiPT0_ll15HIP_vector_typeIjLj3EEmmmmmmmmm, .Lfunc_end3-_ZL16k_get_rows_floatI14__hip_bfloat16fEvPKT_PKiPT0_ll15HIP_vector_typeIjLj3EEmmmmmmmmm
                                        ; -- End function
	.section	.AMDGPU.csdata,"",@progbits
; Kernel info:
; codeLenInByte = 756
; NumSgprs: 48
; NumVgprs: 13
; ScratchSize: 0
; MemoryBound: 0
; FloatMode: 240
; IeeeMode: 1
; LDSByteSize: 0 bytes/workgroup (compile time only)
; SGPRBlocks: 5
; VGPRBlocks: 1
; NumSGPRsForWavesPerEU: 48
; NumVGPRsForWavesPerEU: 13
; Occupancy: 16
; WaveLimiterHint : 1
; COMPUTE_PGM_RSRC2:SCRATCH_EN: 0
; COMPUTE_PGM_RSRC2:USER_SGPR: 13
; COMPUTE_PGM_RSRC2:TRAP_HANDLER: 0
; COMPUTE_PGM_RSRC2:TGID_X_EN: 1
; COMPUTE_PGM_RSRC2:TGID_Y_EN: 1
; COMPUTE_PGM_RSRC2:TGID_Z_EN: 1
; COMPUTE_PGM_RSRC2:TIDIG_COMP_CNT: 0
	.section	.text._ZL10k_get_rowsILi128ELi1EXadL_ZL15dequantize_q1_0PKvliR15HIP_vector_typeIfLj2EEEEfEvS1_PKiPT2_llS2_IjLj3EEmmmmmmmmm,"axG",@progbits,_ZL10k_get_rowsILi128ELi1EXadL_ZL15dequantize_q1_0PKvliR15HIP_vector_typeIfLj2EEEEfEvS1_PKiPT2_llS2_IjLj3EEmmmmmmmmm,comdat
	.globl	_ZL10k_get_rowsILi128ELi1EXadL_ZL15dequantize_q1_0PKvliR15HIP_vector_typeIfLj2EEEEfEvS1_PKiPT2_llS2_IjLj3EEmmmmmmmmm ; -- Begin function _ZL10k_get_rowsILi128ELi1EXadL_ZL15dequantize_q1_0PKvliR15HIP_vector_typeIfLj2EEEEfEvS1_PKiPT2_llS2_IjLj3EEmmmmmmmmm
	.p2align	8
	.type	_ZL10k_get_rowsILi128ELi1EXadL_ZL15dequantize_q1_0PKvliR15HIP_vector_typeIfLj2EEEEfEvS1_PKiPT2_llS2_IjLj3EEmmmmmmmmm,@function
_ZL10k_get_rowsILi128ELi1EXadL_ZL15dequantize_q1_0PKvliR15HIP_vector_typeIfLj2EEEEfEvS1_PKiPT2_llS2_IjLj3EEmmmmmmmmm: ; @_ZL10k_get_rowsILi128ELi1EXadL_ZL15dequantize_q1_0PKvliR15HIP_vector_typeIfLj2EEEEfEvS1_PKiPT2_llS2_IjLj3EEmmmmmmmmm
; %bb.0:
	s_clause 0x1
	s_load_b128 s[4:7], s[0:1], 0x18
	s_load_b64 s[36:37], s[0:1], 0x2c
	s_mov_b32 s34, s15
	s_mov_b32 s35, 0
	s_waitcnt lgkmcnt(0)
	s_mul_i32 s2, s37, s7
	s_mul_hi_u32 s3, s37, s6
	s_mul_i32 s6, s37, s6
	s_add_i32 s7, s3, s2
	s_delay_alu instid0(SALU_CYCLE_1) | instskip(NEXT) | instid1(VALU_DEP_1)
	v_cmp_le_i64_e64 s2, s[6:7], s[34:35]
	s_and_b32 vcc_lo, exec_lo, s2
	s_cbranch_vccnz .LBB4_6
; %bb.1:
	s_clause 0x5
	s_load_b64 s[38:39], s[0:1], 0x88
	s_load_b512 s[16:31], s[0:1], 0x38
	s_load_b64 s[40:41], s[0:1], 0x78
	s_load_b128 s[8:11], s[0:1], 0x0
	s_load_b64 s[44:45], s[0:1], 0x10
	s_load_b32 s3, s[0:1], 0x28
	s_add_u32 s42, s0, 0x80
	s_addc_u32 s43, s1, 0
	s_ashr_i32 s1, s13, 31
	v_mov_b32_e32 v1, 0
	s_waitcnt lgkmcnt(0)
	s_and_b32 s33, s39, 0xffff
	s_mul_i32 s2, s13, s29
	s_mul_hi_u32 s12, s13, s28
	s_mul_i32 s15, s1, s28
	s_mul_i32 s39, s1, s16
	s_add_i32 s1, s12, s2
	s_mul_i32 s0, s13, s28
	s_add_i32 s1, s1, s15
	s_mul_i32 s14, s14, s33
	s_lshl_b64 s[0:1], s[0:1], 2
	s_mul_i32 s28, s13, s17
	s_mul_hi_u32 s29, s13, s16
	v_add_lshl_u32 v0, s14, v0, 1
	s_mul_i32 s12, s13, s16
	s_add_u32 s16, s10, s0
	s_addc_u32 s17, s11, s1
	s_add_i32 s1, s29, s28
	v_cmp_gt_i64_e64 s0, s[4:5], v[0:1]
	s_add_i32 s13, s1, s39
	v_lshlrev_b64 v[4:5], 25, v[0:1]
	v_dual_mov_b32 v2, v1 :: v_dual_mov_b32 v3, v0
	s_lshl_b64 s[10:11], s[12:13], 2
	s_delay_alu instid0(SALU_CYCLE_1)
	s_add_u32 s28, s44, s10
	s_addc_u32 s29, s45, s11
	s_mov_b64 s[10:11], s[34:35]
	s_branch .LBB4_3
.LBB4_2:                                ;   in Loop: Header=BB4_3 Depth=1
	s_or_b32 exec_lo, exec_lo, s39
	s_add_u32 s10, s10, s38
	s_addc_u32 s11, s11, 0
	s_delay_alu instid0(SALU_CYCLE_1) | instskip(NEXT) | instid1(VALU_DEP_1)
	v_cmp_ge_i64_e64 s1, s[10:11], s[6:7]
	s_and_b32 vcc_lo, exec_lo, s1
	s_cbranch_vccnz .LBB4_6
.LBB4_3:                                ; =>This Loop Header: Depth=1
                                        ;     Child Loop BB4_5 Depth 2
	s_and_saveexec_b32 s39, s0
	s_cbranch_execz .LBB4_2
; %bb.4:                                ;   in Loop: Header=BB4_3 Depth=1
	s_mul_hi_u32 s1, s10, s3
	v_dual_mov_b32 v7, v3 :: v_dual_mov_b32 v6, v2
	s_add_i32 s1, s1, s10
	v_dual_mov_b32 v9, v5 :: v_dual_mov_b32 v8, v4
	s_lshr_b32 s1, s1, s36
	v_dual_mov_b32 v11, v1 :: v_dual_mov_b32 v10, v0
	s_mul_i32 s2, s1, s37
	s_mul_i32 s12, s1, s31
	s_mul_hi_u32 s13, s1, s30
	s_ashr_i32 s34, s1, 31
	s_add_i32 s12, s13, s12
	s_mul_i32 s13, s34, s30
	s_sub_i32 s2, s10, s2
	s_add_i32 s13, s12, s13
	s_mul_i32 s12, s2, s41
	s_mul_hi_u32 s14, s2, s40
	s_ashr_i32 s46, s2, 31
	s_add_i32 s14, s14, s12
	s_mul_i32 s12, s1, s30
	s_mul_i32 s15, s46, s40
	s_lshl_b64 s[12:13], s[12:13], 2
	s_add_i32 s15, s14, s15
	s_mul_i32 s14, s2, s40
	s_add_u32 s44, s16, s12
	s_addc_u32 s45, s17, s13
	s_lshl_b64 s[12:13], s[14:15], 2
	s_mul_hi_u32 s14, s1, s18
	s_add_u32 s12, s44, s12
	s_addc_u32 s13, s45, s13
	s_load_b32 s47, s[12:13], 0x0
	s_load_b32 s48, s[42:43], 0x4
	s_mul_i32 s13, s1, s19
	s_mul_i32 s15, s34, s18
	s_add_i32 s13, s14, s13
	s_mul_i32 s12, s1, s18
	s_add_i32 s13, s13, s15
	s_mul_i32 s44, s2, s21
	s_lshl_b64 s[12:13], s[12:13], 2
	s_mul_hi_u32 s45, s2, s20
	s_mul_i32 s15, s46, s20
	s_mul_i32 s14, s2, s20
	s_mul_i32 s49, s1, s25
	s_mul_i32 s34, s34, s24
	s_mul_i32 s46, s46, s26
	s_waitcnt lgkmcnt(0)
	s_ashr_i32 s50, s47, 31
	s_add_u32 s51, s28, s12
	s_addc_u32 s52, s29, s13
	s_add_i32 s12, s45, s44
	s_mul_i32 s53, s47, s23
	s_add_i32 s15, s12, s15
	s_mul_hi_u32 s54, s47, s22
	s_lshl_b64 s[12:13], s[14:15], 2
	s_mul_i32 s50, s50, s22
	s_add_u32 s44, s51, s12
	s_addc_u32 s45, s52, s13
	s_add_i32 s12, s54, s53
	s_mul_i32 s47, s47, s22
	s_add_i32 s12, s12, s50
	s_mul_hi_u32 s14, s1, s24
	s_add_u32 s13, s8, s47
	s_addc_u32 s12, s9, s12
	s_add_i32 s14, s14, s49
	s_mul_i32 s1, s1, s24
	s_add_i32 s14, s14, s34
	s_add_u32 s1, s13, s1
	s_mul_i32 s13, s2, s27
	s_mul_hi_u32 s15, s2, s26
	s_addc_u32 s14, s12, s14
	s_add_i32 s12, s15, s13
	s_mul_i32 s2, s2, s26
	s_add_i32 s13, s12, s46
	s_mul_i32 s34, s48, s33
	s_add_u32 s12, s1, s2
	s_addc_u32 s13, s14, s13
	s_lshl_b64 s[14:15], s[34:35], 25
	s_mov_b32 s46, 0
	s_mov_b32 s47, s34
.LBB4_5:                                ;   Parent Loop BB4_3 Depth=1
                                        ; =>  This Inner Loop Header: Depth=2
	v_and_b32_e32 v14, 0x7f, v10
	v_mad_i64_i32 v[12:13], null, v9, 18, s[12:13]
	v_bfe_u32 v15, v10, 3, 4
	s_delay_alu instid0(VALU_DEP_3) | instskip(NEXT) | instid1(VALU_DEP_2)
	v_add_nc_u32_e32 v18, 1, v14
	v_add_co_u32 v14, vcc_lo, v12, v15
	s_delay_alu instid0(VALU_DEP_2) | instskip(SKIP_1) | instid1(VALU_DEP_2)
	v_lshrrev_b32_e32 v16, 3, v18
	v_add_co_ci_u32_e32 v15, vcc_lo, 0, v13, vcc_lo
	v_add_co_u32 v16, vcc_lo, v12, v16
	v_add_co_ci_u32_e32 v17, vcc_lo, 0, v13, vcc_lo
	s_clause 0x2
	global_load_u16 v19, v[12:13], off
	global_load_u8 v14, v[14:15], off offset:2
	global_load_u8 v15, v[16:17], off offset:2
	v_and_b32_e32 v16, 7, v10
	v_and_b32_e32 v17, 7, v18
	v_add_co_u32 v10, vcc_lo, v10, s34
	v_ashrrev_i64 v[12:13], 30, v[6:7]
	v_add_co_ci_u32_e32 v11, vcc_lo, 0, v11, vcc_lo
	v_add_co_u32 v8, vcc_lo, v8, s14
	v_add_co_ci_u32_e32 v9, vcc_lo, s15, v9, vcc_lo
	s_delay_alu instid0(VALU_DEP_3) | instskip(SKIP_2) | instid1(VALU_DEP_1)
	v_cmp_le_i64_e64 s1, s[4:5], v[10:11]
	v_add_co_u32 v6, vcc_lo, v6, 0
	v_add_co_u32 v12, s2, s44, v12
	v_add_co_ci_u32_e64 v13, s2, s45, v13, s2
	v_add_co_ci_u32_e32 v7, vcc_lo, s47, v7, vcc_lo
	s_or_b32 s46, s1, s46
	s_waitcnt vmcnt(1)
	v_lshrrev_b32_e32 v14, v16, v14
	s_waitcnt vmcnt(0)
	v_lshrrev_b32_e32 v15, v17, v15
	v_cvt_f32_f16_e32 v16, v19
	s_delay_alu instid0(VALU_DEP_3) | instskip(NEXT) | instid1(VALU_DEP_1)
	v_lshlrev_b32_e32 v14, 1, v14
	v_and_b32_e32 v14, 2, v14
	s_delay_alu instid0(VALU_DEP_1) | instskip(NEXT) | instid1(VALU_DEP_1)
	v_add_nc_u32_e32 v14, -1, v14
	v_cvt_f32_i32_e32 v14, v14
	s_delay_alu instid0(VALU_DEP_1) | instskip(NEXT) | instid1(VALU_DEP_1)
	v_dual_mul_f32 v14, v16, v14 :: v_dual_lshlrev_b32 v15, 1, v15
	v_and_b32_e32 v15, 2, v15
	s_delay_alu instid0(VALU_DEP_1) | instskip(NEXT) | instid1(VALU_DEP_1)
	v_add_nc_u32_e32 v15, -1, v15
	v_cvt_f32_i32_e32 v15, v15
	s_delay_alu instid0(VALU_DEP_1)
	v_mul_f32_e32 v15, v16, v15
	global_store_b64 v[12:13], v[14:15], off
	s_and_not1_b32 exec_lo, exec_lo, s46
	s_cbranch_execnz .LBB4_5
	s_branch .LBB4_2
.LBB4_6:
	s_nop 0
	s_sendmsg sendmsg(MSG_DEALLOC_VGPRS)
	s_endpgm
	.section	.rodata,"a",@progbits
	.p2align	6, 0x0
	.amdhsa_kernel _ZL10k_get_rowsILi128ELi1EXadL_ZL15dequantize_q1_0PKvliR15HIP_vector_typeIfLj2EEEEfEvS1_PKiPT2_llS2_IjLj3EEmmmmmmmmm
		.amdhsa_group_segment_fixed_size 0
		.amdhsa_private_segment_fixed_size 0
		.amdhsa_kernarg_size 384
		.amdhsa_user_sgpr_count 13
		.amdhsa_user_sgpr_dispatch_ptr 0
		.amdhsa_user_sgpr_queue_ptr 0
		.amdhsa_user_sgpr_kernarg_segment_ptr 1
		.amdhsa_user_sgpr_dispatch_id 0
		.amdhsa_user_sgpr_private_segment_size 0
		.amdhsa_wavefront_size32 1
		.amdhsa_uses_dynamic_stack 0
		.amdhsa_enable_private_segment 0
		.amdhsa_system_sgpr_workgroup_id_x 1
		.amdhsa_system_sgpr_workgroup_id_y 1
		.amdhsa_system_sgpr_workgroup_id_z 1
		.amdhsa_system_sgpr_workgroup_info 0
		.amdhsa_system_vgpr_workitem_id 0
		.amdhsa_next_free_vgpr 20
		.amdhsa_next_free_sgpr 55
		.amdhsa_reserve_vcc 1
		.amdhsa_float_round_mode_32 0
		.amdhsa_float_round_mode_16_64 0
		.amdhsa_float_denorm_mode_32 3
		.amdhsa_float_denorm_mode_16_64 3
		.amdhsa_dx10_clamp 1
		.amdhsa_ieee_mode 1
		.amdhsa_fp16_overflow 0
		.amdhsa_workgroup_processor_mode 1
		.amdhsa_memory_ordered 1
		.amdhsa_forward_progress 0
		.amdhsa_shared_vgpr_count 0
		.amdhsa_exception_fp_ieee_invalid_op 0
		.amdhsa_exception_fp_denorm_src 0
		.amdhsa_exception_fp_ieee_div_zero 0
		.amdhsa_exception_fp_ieee_overflow 0
		.amdhsa_exception_fp_ieee_underflow 0
		.amdhsa_exception_fp_ieee_inexact 0
		.amdhsa_exception_int_div_zero 0
	.end_amdhsa_kernel
	.section	.text._ZL10k_get_rowsILi128ELi1EXadL_ZL15dequantize_q1_0PKvliR15HIP_vector_typeIfLj2EEEEfEvS1_PKiPT2_llS2_IjLj3EEmmmmmmmmm,"axG",@progbits,_ZL10k_get_rowsILi128ELi1EXadL_ZL15dequantize_q1_0PKvliR15HIP_vector_typeIfLj2EEEEfEvS1_PKiPT2_llS2_IjLj3EEmmmmmmmmm,comdat
.Lfunc_end4:
	.size	_ZL10k_get_rowsILi128ELi1EXadL_ZL15dequantize_q1_0PKvliR15HIP_vector_typeIfLj2EEEEfEvS1_PKiPT2_llS2_IjLj3EEmmmmmmmmm, .Lfunc_end4-_ZL10k_get_rowsILi128ELi1EXadL_ZL15dequantize_q1_0PKvliR15HIP_vector_typeIfLj2EEEEfEvS1_PKiPT2_llS2_IjLj3EEmmmmmmmmm
                                        ; -- End function
	.section	.AMDGPU.csdata,"",@progbits
; Kernel info:
; codeLenInByte = 932
; NumSgprs: 57
; NumVgprs: 20
; ScratchSize: 0
; MemoryBound: 0
; FloatMode: 240
; IeeeMode: 1
; LDSByteSize: 0 bytes/workgroup (compile time only)
; SGPRBlocks: 7
; VGPRBlocks: 2
; NumSGPRsForWavesPerEU: 57
; NumVGPRsForWavesPerEU: 20
; Occupancy: 16
; WaveLimiterHint : 1
; COMPUTE_PGM_RSRC2:SCRATCH_EN: 0
; COMPUTE_PGM_RSRC2:USER_SGPR: 13
; COMPUTE_PGM_RSRC2:TRAP_HANDLER: 0
; COMPUTE_PGM_RSRC2:TGID_X_EN: 1
; COMPUTE_PGM_RSRC2:TGID_Y_EN: 1
; COMPUTE_PGM_RSRC2:TGID_Z_EN: 1
; COMPUTE_PGM_RSRC2:TIDIG_COMP_CNT: 0
	.section	.text._ZL10k_get_rowsILi32ELi2EXadL_ZL15dequantize_q4_0PKvliR15HIP_vector_typeIfLj2EEEEfEvS1_PKiPT2_llS2_IjLj3EEmmmmmmmmm,"axG",@progbits,_ZL10k_get_rowsILi32ELi2EXadL_ZL15dequantize_q4_0PKvliR15HIP_vector_typeIfLj2EEEEfEvS1_PKiPT2_llS2_IjLj3EEmmmmmmmmm,comdat
	.globl	_ZL10k_get_rowsILi32ELi2EXadL_ZL15dequantize_q4_0PKvliR15HIP_vector_typeIfLj2EEEEfEvS1_PKiPT2_llS2_IjLj3EEmmmmmmmmm ; -- Begin function _ZL10k_get_rowsILi32ELi2EXadL_ZL15dequantize_q4_0PKvliR15HIP_vector_typeIfLj2EEEEfEvS1_PKiPT2_llS2_IjLj3EEmmmmmmmmm
	.p2align	8
	.type	_ZL10k_get_rowsILi32ELi2EXadL_ZL15dequantize_q4_0PKvliR15HIP_vector_typeIfLj2EEEEfEvS1_PKiPT2_llS2_IjLj3EEmmmmmmmmm,@function
_ZL10k_get_rowsILi32ELi2EXadL_ZL15dequantize_q4_0PKvliR15HIP_vector_typeIfLj2EEEEfEvS1_PKiPT2_llS2_IjLj3EEmmmmmmmmm: ; @_ZL10k_get_rowsILi32ELi2EXadL_ZL15dequantize_q4_0PKvliR15HIP_vector_typeIfLj2EEEEfEvS1_PKiPT2_llS2_IjLj3EEmmmmmmmmm
; %bb.0:
	s_clause 0x1
	s_load_b128 s[4:7], s[0:1], 0x18
	s_load_b64 s[36:37], s[0:1], 0x2c
	s_mov_b32 s34, s15
	s_mov_b32 s35, 0
	s_waitcnt lgkmcnt(0)
	s_mul_i32 s2, s37, s7
	s_mul_hi_u32 s3, s37, s6
	s_mul_i32 s6, s37, s6
	s_add_i32 s7, s3, s2
	s_delay_alu instid0(SALU_CYCLE_1) | instskip(NEXT) | instid1(VALU_DEP_1)
	v_cmp_le_i64_e64 s2, s[6:7], s[34:35]
	s_and_b32 vcc_lo, exec_lo, s2
	s_cbranch_vccnz .LBB5_6
; %bb.1:
	s_clause 0x5
	s_load_b64 s[38:39], s[0:1], 0x88
	s_load_b512 s[16:31], s[0:1], 0x38
	s_load_b64 s[40:41], s[0:1], 0x78
	s_load_b128 s[8:11], s[0:1], 0x0
	s_load_b64 s[44:45], s[0:1], 0x10
	s_load_b32 s3, s[0:1], 0x28
	s_add_u32 s42, s0, 0x80
	s_addc_u32 s43, s1, 0
	s_ashr_i32 s1, s13, 31
	v_mov_b32_e32 v1, 0
	s_waitcnt lgkmcnt(0)
	s_and_b32 s33, s39, 0xffff
	s_mul_i32 s2, s13, s29
	s_mul_hi_u32 s12, s13, s28
	s_mul_i32 s15, s1, s28
	s_mul_i32 s39, s1, s16
	s_add_i32 s1, s12, s2
	s_mul_i32 s0, s13, s28
	s_add_i32 s1, s1, s15
	s_mul_i32 s14, s14, s33
	s_lshl_b64 s[0:1], s[0:1], 2
	s_mul_i32 s28, s13, s17
	s_mul_hi_u32 s29, s13, s16
	v_add_lshl_u32 v0, s14, v0, 1
	s_mul_i32 s12, s13, s16
	s_add_u32 s16, s10, s0
	s_addc_u32 s17, s11, s1
	s_add_i32 s1, s29, s28
	v_cmp_gt_i64_e64 s0, s[4:5], v[0:1]
	s_add_i32 s13, s1, s39
	v_lshlrev_b64 v[2:3], 27, v[0:1]
	s_lshl_b64 s[10:11], s[12:13], 2
	s_delay_alu instid0(SALU_CYCLE_1)
	s_add_u32 s28, s44, s10
	s_addc_u32 s29, s45, s11
	s_mov_b64 s[10:11], s[34:35]
	s_branch .LBB5_3
.LBB5_2:                                ;   in Loop: Header=BB5_3 Depth=1
	s_set_inst_prefetch_distance 0x2
	s_or_b32 exec_lo, exec_lo, s39
	s_add_u32 s10, s10, s38
	s_addc_u32 s11, s11, 0
	s_delay_alu instid0(SALU_CYCLE_1) | instskip(NEXT) | instid1(VALU_DEP_1)
	v_cmp_ge_i64_e64 s1, s[10:11], s[6:7]
	s_and_b32 vcc_lo, exec_lo, s1
	s_cbranch_vccnz .LBB5_6
.LBB5_3:                                ; =>This Loop Header: Depth=1
                                        ;     Child Loop BB5_5 Depth 2
	s_and_saveexec_b32 s39, s0
	s_cbranch_execz .LBB5_2
; %bb.4:                                ;   in Loop: Header=BB5_3 Depth=1
	s_mul_hi_u32 s1, s10, s3
	v_dual_mov_b32 v5, v3 :: v_dual_mov_b32 v4, v2
	s_add_i32 s1, s1, s10
	v_dual_mov_b32 v7, v1 :: v_dual_mov_b32 v6, v0
	s_lshr_b32 s1, s1, s36
	s_delay_alu instid0(SALU_CYCLE_1)
	s_mul_i32 s2, s1, s37
	s_mul_i32 s12, s1, s31
	s_mul_hi_u32 s13, s1, s30
	s_ashr_i32 s34, s1, 31
	s_add_i32 s12, s13, s12
	s_mul_i32 s13, s34, s30
	s_sub_i32 s2, s10, s2
	s_add_i32 s13, s12, s13
	s_mul_i32 s12, s2, s41
	s_mul_hi_u32 s14, s2, s40
	s_ashr_i32 s46, s2, 31
	s_add_i32 s14, s14, s12
	s_mul_i32 s12, s1, s30
	s_mul_i32 s15, s46, s40
	s_lshl_b64 s[12:13], s[12:13], 2
	s_add_i32 s15, s14, s15
	s_mul_i32 s14, s2, s40
	s_add_u32 s44, s16, s12
	s_addc_u32 s45, s17, s13
	s_lshl_b64 s[12:13], s[14:15], 2
	s_mul_hi_u32 s14, s1, s18
	s_add_u32 s12, s44, s12
	s_addc_u32 s13, s45, s13
	s_load_b32 s47, s[12:13], 0x0
	s_load_b32 s48, s[42:43], 0x4
	s_mul_i32 s13, s1, s19
	s_mul_i32 s15, s34, s18
	s_add_i32 s13, s14, s13
	s_mul_i32 s12, s1, s18
	s_add_i32 s13, s13, s15
	s_mul_i32 s44, s2, s21
	s_lshl_b64 s[12:13], s[12:13], 2
	s_mul_hi_u32 s45, s2, s20
	s_mul_i32 s15, s46, s20
	s_mul_i32 s14, s2, s20
	;; [unrolled: 1-line block ×5, first 2 shown]
	s_waitcnt lgkmcnt(0)
	s_ashr_i32 s50, s47, 31
	s_add_u32 s51, s28, s12
	s_addc_u32 s52, s29, s13
	s_add_i32 s12, s45, s44
	s_mul_i32 s53, s47, s23
	s_add_i32 s15, s12, s15
	s_mul_hi_u32 s54, s47, s22
	s_lshl_b64 s[12:13], s[14:15], 2
	s_mul_i32 s50, s50, s22
	s_add_u32 s44, s51, s12
	s_addc_u32 s45, s52, s13
	s_add_i32 s12, s54, s53
	s_mul_i32 s47, s47, s22
	s_add_i32 s12, s12, s50
	s_mul_hi_u32 s14, s1, s24
	s_add_u32 s13, s8, s47
	s_addc_u32 s12, s9, s12
	s_add_i32 s14, s14, s49
	s_mul_i32 s1, s1, s24
	s_add_i32 s14, s14, s34
	s_add_u32 s1, s13, s1
	s_mul_i32 s13, s2, s27
	s_mul_hi_u32 s15, s2, s26
	s_addc_u32 s14, s12, s14
	s_add_i32 s12, s15, s13
	s_mul_i32 s2, s2, s26
	s_add_i32 s13, s12, s46
	s_mul_i32 s34, s48, s33
	s_add_u32 s12, s1, s2
	s_addc_u32 s13, s14, s13
	s_lshl_b64 s[14:15], s[34:35], 27
	s_mov_b32 s46, 0
	s_set_inst_prefetch_distance 0x1
	.p2align	6
.LBB5_5:                                ;   Parent Loop BB5_3 Depth=1
                                        ; =>  This Inner Loop Header: Depth=2
	v_mad_i64_i32 v[8:9], null, v5, 18, s[12:13]
	v_bfe_u32 v12, v6, 1, 4
	s_delay_alu instid0(VALU_DEP_1) | instskip(NEXT) | instid1(VALU_DEP_3)
	v_add_co_u32 v10, vcc_lo, v8, v12
	v_add_co_ci_u32_e32 v11, vcc_lo, 0, v9, vcc_lo
	v_add_co_u32 v4, vcc_lo, v4, s14
	s_clause 0x1
	global_load_u16 v13, v[8:9], off
	global_load_u8 v10, v[10:11], off offset:2
	v_and_or_b32 v8, 0xffffffe0, v6, v12
	v_add_co_u32 v6, s1, v6, s34
	s_delay_alu instid0(VALU_DEP_1) | instskip(NEXT) | instid1(VALU_DEP_3)
	v_add_co_ci_u32_e64 v7, s1, 0, v7, s1
	v_ashrrev_i32_e32 v9, 31, v8
	v_add_co_ci_u32_e32 v5, vcc_lo, s15, v5, vcc_lo
	s_delay_alu instid0(VALU_DEP_3) | instskip(NEXT) | instid1(VALU_DEP_3)
	v_cmp_le_i64_e64 s1, s[4:5], v[6:7]
	v_lshlrev_b64 v[8:9], 2, v[8:9]
	s_delay_alu instid0(VALU_DEP_2) | instskip(NEXT) | instid1(VALU_DEP_1)
	s_or_b32 s46, s1, s46
	v_add_co_u32 v8, s2, s44, v8
	s_delay_alu instid0(VALU_DEP_1)
	v_add_co_ci_u32_e64 v9, s2, s45, v9, s2
	s_waitcnt vmcnt(1)
	v_cvt_f32_f16_e32 v12, v13
	s_waitcnt vmcnt(0)
	v_and_b32_e32 v11, 15, v10
	v_lshrrev_b32_e32 v10, 4, v10
	s_delay_alu instid0(VALU_DEP_1) | instskip(NEXT) | instid1(VALU_DEP_1)
	v_add_nc_u32_e32 v10, -8, v10
	v_cvt_f32_i32_e32 v10, v10
	s_delay_alu instid0(VALU_DEP_1) | instskip(NEXT) | instid1(VALU_DEP_1)
	v_dual_mul_f32 v10, v12, v10 :: v_dual_add_nc_u32 v11, -8, v11
	v_cvt_f32_i32_e32 v11, v11
	s_delay_alu instid0(VALU_DEP_1)
	v_mul_f32_e32 v11, v12, v11
	s_clause 0x1
	global_store_b32 v[8:9], v11, off
	global_store_b32 v[8:9], v10, off offset:64
	s_and_not1_b32 exec_lo, exec_lo, s46
	s_cbranch_execnz .LBB5_5
	s_branch .LBB5_2
.LBB5_6:
	s_nop 0
	s_sendmsg sendmsg(MSG_DEALLOC_VGPRS)
	s_endpgm
	.section	.rodata,"a",@progbits
	.p2align	6, 0x0
	.amdhsa_kernel _ZL10k_get_rowsILi32ELi2EXadL_ZL15dequantize_q4_0PKvliR15HIP_vector_typeIfLj2EEEEfEvS1_PKiPT2_llS2_IjLj3EEmmmmmmmmm
		.amdhsa_group_segment_fixed_size 0
		.amdhsa_private_segment_fixed_size 0
		.amdhsa_kernarg_size 384
		.amdhsa_user_sgpr_count 13
		.amdhsa_user_sgpr_dispatch_ptr 0
		.amdhsa_user_sgpr_queue_ptr 0
		.amdhsa_user_sgpr_kernarg_segment_ptr 1
		.amdhsa_user_sgpr_dispatch_id 0
		.amdhsa_user_sgpr_private_segment_size 0
		.amdhsa_wavefront_size32 1
		.amdhsa_uses_dynamic_stack 0
		.amdhsa_enable_private_segment 0
		.amdhsa_system_sgpr_workgroup_id_x 1
		.amdhsa_system_sgpr_workgroup_id_y 1
		.amdhsa_system_sgpr_workgroup_id_z 1
		.amdhsa_system_sgpr_workgroup_info 0
		.amdhsa_system_vgpr_workitem_id 0
		.amdhsa_next_free_vgpr 14
		.amdhsa_next_free_sgpr 55
		.amdhsa_reserve_vcc 1
		.amdhsa_float_round_mode_32 0
		.amdhsa_float_round_mode_16_64 0
		.amdhsa_float_denorm_mode_32 3
		.amdhsa_float_denorm_mode_16_64 3
		.amdhsa_dx10_clamp 1
		.amdhsa_ieee_mode 1
		.amdhsa_fp16_overflow 0
		.amdhsa_workgroup_processor_mode 1
		.amdhsa_memory_ordered 1
		.amdhsa_forward_progress 0
		.amdhsa_shared_vgpr_count 0
		.amdhsa_exception_fp_ieee_invalid_op 0
		.amdhsa_exception_fp_denorm_src 0
		.amdhsa_exception_fp_ieee_div_zero 0
		.amdhsa_exception_fp_ieee_overflow 0
		.amdhsa_exception_fp_ieee_underflow 0
		.amdhsa_exception_fp_ieee_inexact 0
		.amdhsa_exception_int_div_zero 0
	.end_amdhsa_kernel
	.section	.text._ZL10k_get_rowsILi32ELi2EXadL_ZL15dequantize_q4_0PKvliR15HIP_vector_typeIfLj2EEEEfEvS1_PKiPT2_llS2_IjLj3EEmmmmmmmmm,"axG",@progbits,_ZL10k_get_rowsILi32ELi2EXadL_ZL15dequantize_q4_0PKvliR15HIP_vector_typeIfLj2EEEEfEvS1_PKiPT2_llS2_IjLj3EEmmmmmmmmm,comdat
.Lfunc_end5:
	.size	_ZL10k_get_rowsILi32ELi2EXadL_ZL15dequantize_q4_0PKvliR15HIP_vector_typeIfLj2EEEEfEvS1_PKiPT2_llS2_IjLj3EEmmmmmmmmm, .Lfunc_end5-_ZL10k_get_rowsILi32ELi2EXadL_ZL15dequantize_q4_0PKvliR15HIP_vector_typeIfLj2EEEEfEvS1_PKiPT2_llS2_IjLj3EEmmmmmmmmm
                                        ; -- End function
	.section	.AMDGPU.csdata,"",@progbits
; Kernel info:
; codeLenInByte = 884
; NumSgprs: 57
; NumVgprs: 14
; ScratchSize: 0
; MemoryBound: 0
; FloatMode: 240
; IeeeMode: 1
; LDSByteSize: 0 bytes/workgroup (compile time only)
; SGPRBlocks: 7
; VGPRBlocks: 1
; NumSGPRsForWavesPerEU: 57
; NumVGPRsForWavesPerEU: 14
; Occupancy: 16
; WaveLimiterHint : 1
; COMPUTE_PGM_RSRC2:SCRATCH_EN: 0
; COMPUTE_PGM_RSRC2:USER_SGPR: 13
; COMPUTE_PGM_RSRC2:TRAP_HANDLER: 0
; COMPUTE_PGM_RSRC2:TGID_X_EN: 1
; COMPUTE_PGM_RSRC2:TGID_Y_EN: 1
; COMPUTE_PGM_RSRC2:TGID_Z_EN: 1
; COMPUTE_PGM_RSRC2:TIDIG_COMP_CNT: 0
	.section	.text._ZL10k_get_rowsILi32ELi2EXadL_ZL15dequantize_q4_1PKvliR15HIP_vector_typeIfLj2EEEEfEvS1_PKiPT2_llS2_IjLj3EEmmmmmmmmm,"axG",@progbits,_ZL10k_get_rowsILi32ELi2EXadL_ZL15dequantize_q4_1PKvliR15HIP_vector_typeIfLj2EEEEfEvS1_PKiPT2_llS2_IjLj3EEmmmmmmmmm,comdat
	.globl	_ZL10k_get_rowsILi32ELi2EXadL_ZL15dequantize_q4_1PKvliR15HIP_vector_typeIfLj2EEEEfEvS1_PKiPT2_llS2_IjLj3EEmmmmmmmmm ; -- Begin function _ZL10k_get_rowsILi32ELi2EXadL_ZL15dequantize_q4_1PKvliR15HIP_vector_typeIfLj2EEEEfEvS1_PKiPT2_llS2_IjLj3EEmmmmmmmmm
	.p2align	8
	.type	_ZL10k_get_rowsILi32ELi2EXadL_ZL15dequantize_q4_1PKvliR15HIP_vector_typeIfLj2EEEEfEvS1_PKiPT2_llS2_IjLj3EEmmmmmmmmm,@function
_ZL10k_get_rowsILi32ELi2EXadL_ZL15dequantize_q4_1PKvliR15HIP_vector_typeIfLj2EEEEfEvS1_PKiPT2_llS2_IjLj3EEmmmmmmmmm: ; @_ZL10k_get_rowsILi32ELi2EXadL_ZL15dequantize_q4_1PKvliR15HIP_vector_typeIfLj2EEEEfEvS1_PKiPT2_llS2_IjLj3EEmmmmmmmmm
; %bb.0:
	s_clause 0x1
	s_load_b128 s[4:7], s[0:1], 0x18
	s_load_b64 s[36:37], s[0:1], 0x2c
	s_mov_b32 s34, s15
	s_mov_b32 s35, 0
	s_waitcnt lgkmcnt(0)
	s_mul_i32 s2, s37, s7
	s_mul_hi_u32 s3, s37, s6
	s_mul_i32 s6, s37, s6
	s_add_i32 s7, s3, s2
	s_delay_alu instid0(SALU_CYCLE_1) | instskip(NEXT) | instid1(VALU_DEP_1)
	v_cmp_le_i64_e64 s2, s[6:7], s[34:35]
	s_and_b32 vcc_lo, exec_lo, s2
	s_cbranch_vccnz .LBB6_6
; %bb.1:
	s_clause 0x5
	s_load_b64 s[38:39], s[0:1], 0x88
	s_load_b512 s[16:31], s[0:1], 0x38
	s_load_b64 s[40:41], s[0:1], 0x78
	s_load_b128 s[8:11], s[0:1], 0x0
	s_load_b64 s[44:45], s[0:1], 0x10
	s_load_b32 s3, s[0:1], 0x28
	s_add_u32 s42, s0, 0x80
	s_addc_u32 s43, s1, 0
	s_ashr_i32 s1, s13, 31
	v_mov_b32_e32 v1, 0
	s_waitcnt lgkmcnt(0)
	s_and_b32 s33, s39, 0xffff
	s_mul_i32 s2, s13, s29
	s_mul_hi_u32 s12, s13, s28
	s_mul_i32 s15, s1, s28
	s_mul_i32 s39, s1, s16
	s_add_i32 s1, s12, s2
	s_mul_i32 s0, s13, s28
	s_add_i32 s1, s1, s15
	s_mul_i32 s14, s14, s33
	s_lshl_b64 s[0:1], s[0:1], 2
	s_mul_i32 s28, s13, s17
	s_mul_hi_u32 s29, s13, s16
	v_add_lshl_u32 v0, s14, v0, 1
	s_mul_i32 s12, s13, s16
	s_add_u32 s16, s10, s0
	s_addc_u32 s17, s11, s1
	s_add_i32 s1, s29, s28
	v_cmp_gt_i64_e64 s0, s[4:5], v[0:1]
	s_add_i32 s13, s1, s39
	v_lshlrev_b64 v[2:3], 27, v[0:1]
	s_lshl_b64 s[10:11], s[12:13], 2
	s_delay_alu instid0(SALU_CYCLE_1)
	s_add_u32 s28, s44, s10
	s_addc_u32 s29, s45, s11
	s_mov_b64 s[10:11], s[34:35]
	s_branch .LBB6_3
.LBB6_2:                                ;   in Loop: Header=BB6_3 Depth=1
	s_set_inst_prefetch_distance 0x2
	s_or_b32 exec_lo, exec_lo, s39
	s_add_u32 s10, s10, s38
	s_addc_u32 s11, s11, 0
	s_delay_alu instid0(SALU_CYCLE_1) | instskip(NEXT) | instid1(VALU_DEP_1)
	v_cmp_ge_i64_e64 s1, s[10:11], s[6:7]
	s_and_b32 vcc_lo, exec_lo, s1
	s_cbranch_vccnz .LBB6_6
.LBB6_3:                                ; =>This Loop Header: Depth=1
                                        ;     Child Loop BB6_5 Depth 2
	s_and_saveexec_b32 s39, s0
	s_cbranch_execz .LBB6_2
; %bb.4:                                ;   in Loop: Header=BB6_3 Depth=1
	s_mul_hi_u32 s1, s10, s3
	v_dual_mov_b32 v5, v3 :: v_dual_mov_b32 v4, v2
	s_add_i32 s1, s1, s10
	v_dual_mov_b32 v7, v1 :: v_dual_mov_b32 v6, v0
	s_lshr_b32 s1, s1, s36
	s_delay_alu instid0(SALU_CYCLE_1)
	s_mul_i32 s2, s1, s37
	s_mul_i32 s12, s1, s31
	s_mul_hi_u32 s13, s1, s30
	s_ashr_i32 s34, s1, 31
	s_add_i32 s12, s13, s12
	s_mul_i32 s13, s34, s30
	s_sub_i32 s2, s10, s2
	s_add_i32 s13, s12, s13
	s_mul_i32 s12, s2, s41
	s_mul_hi_u32 s14, s2, s40
	s_ashr_i32 s46, s2, 31
	s_add_i32 s14, s14, s12
	s_mul_i32 s12, s1, s30
	s_mul_i32 s15, s46, s40
	s_lshl_b64 s[12:13], s[12:13], 2
	s_add_i32 s15, s14, s15
	s_mul_i32 s14, s2, s40
	s_add_u32 s44, s16, s12
	s_addc_u32 s45, s17, s13
	s_lshl_b64 s[12:13], s[14:15], 2
	s_mul_hi_u32 s14, s1, s18
	s_add_u32 s12, s44, s12
	s_addc_u32 s13, s45, s13
	s_load_b32 s47, s[12:13], 0x0
	s_load_b32 s48, s[42:43], 0x4
	s_mul_i32 s13, s1, s19
	s_mul_i32 s15, s34, s18
	s_add_i32 s13, s14, s13
	s_mul_i32 s12, s1, s18
	s_add_i32 s13, s13, s15
	s_mul_i32 s44, s2, s21
	s_lshl_b64 s[12:13], s[12:13], 2
	s_mul_hi_u32 s45, s2, s20
	s_mul_i32 s15, s46, s20
	s_mul_i32 s14, s2, s20
	;; [unrolled: 1-line block ×5, first 2 shown]
	s_waitcnt lgkmcnt(0)
	s_ashr_i32 s50, s47, 31
	s_add_u32 s51, s28, s12
	s_addc_u32 s52, s29, s13
	s_add_i32 s12, s45, s44
	s_mul_i32 s53, s47, s23
	s_add_i32 s15, s12, s15
	s_mul_hi_u32 s54, s47, s22
	s_lshl_b64 s[12:13], s[14:15], 2
	s_mul_i32 s50, s50, s22
	s_add_u32 s44, s51, s12
	s_addc_u32 s45, s52, s13
	s_add_i32 s12, s54, s53
	s_mul_i32 s47, s47, s22
	s_add_i32 s12, s12, s50
	s_mul_hi_u32 s14, s1, s24
	s_add_u32 s13, s8, s47
	s_addc_u32 s12, s9, s12
	s_add_i32 s14, s14, s49
	s_mul_i32 s1, s1, s24
	s_add_i32 s14, s14, s34
	s_add_u32 s1, s13, s1
	s_mul_i32 s13, s2, s27
	s_mul_hi_u32 s15, s2, s26
	s_addc_u32 s14, s12, s14
	s_add_i32 s12, s15, s13
	s_mul_i32 s2, s2, s26
	s_add_i32 s13, s12, s46
	s_mul_i32 s34, s48, s33
	s_add_u32 s12, s1, s2
	s_addc_u32 s13, s14, s13
	s_lshl_b64 s[14:15], s[34:35], 27
	s_mov_b32 s46, 0
	s_set_inst_prefetch_distance 0x1
	.p2align	6
.LBB6_5:                                ;   Parent Loop BB6_3 Depth=1
                                        ; =>  This Inner Loop Header: Depth=2
	v_mad_i64_i32 v[8:9], null, v5, 20, s[12:13]
	v_bfe_u32 v12, v6, 1, 4
	s_delay_alu instid0(VALU_DEP_1) | instskip(NEXT) | instid1(VALU_DEP_3)
	v_add_co_u32 v10, vcc_lo, v8, v12
	v_add_co_ci_u32_e32 v11, vcc_lo, 0, v9, vcc_lo
	v_add_co_u32 v4, vcc_lo, v4, s14
	s_clause 0x1
	global_load_b32 v13, v[8:9], off
	global_load_u8 v10, v[10:11], off offset:4
	v_and_or_b32 v8, 0xffffffe0, v6, v12
	v_add_co_u32 v6, s1, v6, s34
	s_delay_alu instid0(VALU_DEP_1) | instskip(NEXT) | instid1(VALU_DEP_3)
	v_add_co_ci_u32_e64 v7, s1, 0, v7, s1
	v_ashrrev_i32_e32 v9, 31, v8
	v_add_co_ci_u32_e32 v5, vcc_lo, s15, v5, vcc_lo
	s_delay_alu instid0(VALU_DEP_3) | instskip(NEXT) | instid1(VALU_DEP_3)
	v_cmp_le_i64_e64 s1, s[4:5], v[6:7]
	v_lshlrev_b64 v[8:9], 2, v[8:9]
	s_delay_alu instid0(VALU_DEP_2) | instskip(NEXT) | instid1(VALU_DEP_1)
	s_or_b32 s46, s1, s46
	v_add_co_u32 v8, s2, s44, v8
	s_delay_alu instid0(VALU_DEP_1) | instskip(SKIP_3) | instid1(VALU_DEP_2)
	v_add_co_ci_u32_e64 v9, s2, s45, v9, s2
	s_waitcnt vmcnt(0)
	v_and_b32_e32 v11, 15, v10
	v_lshrrev_b32_e32 v10, 4, v10
	v_cvt_f32_ubyte0_e32 v11, v11
	s_delay_alu instid0(VALU_DEP_2) | instskip(NEXT) | instid1(VALU_DEP_2)
	v_cvt_f32_ubyte0_e32 v10, v10
	v_fma_mix_f32 v11, v13, v11, v13 op_sel:[0,0,1] op_sel_hi:[1,0,1]
	s_delay_alu instid0(VALU_DEP_2)
	v_fma_mix_f32 v10, v13, v10, v13 op_sel:[0,0,1] op_sel_hi:[1,0,1]
	s_clause 0x1
	global_store_b32 v[8:9], v11, off
	global_store_b32 v[8:9], v10, off offset:64
	s_and_not1_b32 exec_lo, exec_lo, s46
	s_cbranch_execnz .LBB6_5
	s_branch .LBB6_2
.LBB6_6:
	s_nop 0
	s_sendmsg sendmsg(MSG_DEALLOC_VGPRS)
	s_endpgm
	.section	.rodata,"a",@progbits
	.p2align	6, 0x0
	.amdhsa_kernel _ZL10k_get_rowsILi32ELi2EXadL_ZL15dequantize_q4_1PKvliR15HIP_vector_typeIfLj2EEEEfEvS1_PKiPT2_llS2_IjLj3EEmmmmmmmmm
		.amdhsa_group_segment_fixed_size 0
		.amdhsa_private_segment_fixed_size 0
		.amdhsa_kernarg_size 384
		.amdhsa_user_sgpr_count 13
		.amdhsa_user_sgpr_dispatch_ptr 0
		.amdhsa_user_sgpr_queue_ptr 0
		.amdhsa_user_sgpr_kernarg_segment_ptr 1
		.amdhsa_user_sgpr_dispatch_id 0
		.amdhsa_user_sgpr_private_segment_size 0
		.amdhsa_wavefront_size32 1
		.amdhsa_uses_dynamic_stack 0
		.amdhsa_enable_private_segment 0
		.amdhsa_system_sgpr_workgroup_id_x 1
		.amdhsa_system_sgpr_workgroup_id_y 1
		.amdhsa_system_sgpr_workgroup_id_z 1
		.amdhsa_system_sgpr_workgroup_info 0
		.amdhsa_system_vgpr_workitem_id 0
		.amdhsa_next_free_vgpr 14
		.amdhsa_next_free_sgpr 55
		.amdhsa_reserve_vcc 1
		.amdhsa_float_round_mode_32 0
		.amdhsa_float_round_mode_16_64 0
		.amdhsa_float_denorm_mode_32 3
		.amdhsa_float_denorm_mode_16_64 3
		.amdhsa_dx10_clamp 1
		.amdhsa_ieee_mode 1
		.amdhsa_fp16_overflow 0
		.amdhsa_workgroup_processor_mode 1
		.amdhsa_memory_ordered 1
		.amdhsa_forward_progress 0
		.amdhsa_shared_vgpr_count 0
		.amdhsa_exception_fp_ieee_invalid_op 0
		.amdhsa_exception_fp_denorm_src 0
		.amdhsa_exception_fp_ieee_div_zero 0
		.amdhsa_exception_fp_ieee_overflow 0
		.amdhsa_exception_fp_ieee_underflow 0
		.amdhsa_exception_fp_ieee_inexact 0
		.amdhsa_exception_int_div_zero 0
	.end_amdhsa_kernel
	.section	.text._ZL10k_get_rowsILi32ELi2EXadL_ZL15dequantize_q4_1PKvliR15HIP_vector_typeIfLj2EEEEfEvS1_PKiPT2_llS2_IjLj3EEmmmmmmmmm,"axG",@progbits,_ZL10k_get_rowsILi32ELi2EXadL_ZL15dequantize_q4_1PKvliR15HIP_vector_typeIfLj2EEEEfEvS1_PKiPT2_llS2_IjLj3EEmmmmmmmmm,comdat
.Lfunc_end6:
	.size	_ZL10k_get_rowsILi32ELi2EXadL_ZL15dequantize_q4_1PKvliR15HIP_vector_typeIfLj2EEEEfEvS1_PKiPT2_llS2_IjLj3EEmmmmmmmmm, .Lfunc_end6-_ZL10k_get_rowsILi32ELi2EXadL_ZL15dequantize_q4_1PKvliR15HIP_vector_typeIfLj2EEEEfEvS1_PKiPT2_llS2_IjLj3EEmmmmmmmmm
                                        ; -- End function
	.section	.AMDGPU.csdata,"",@progbits
; Kernel info:
; codeLenInByte = 872
; NumSgprs: 57
; NumVgprs: 14
; ScratchSize: 0
; MemoryBound: 0
; FloatMode: 240
; IeeeMode: 1
; LDSByteSize: 0 bytes/workgroup (compile time only)
; SGPRBlocks: 7
; VGPRBlocks: 1
; NumSGPRsForWavesPerEU: 57
; NumVGPRsForWavesPerEU: 14
; Occupancy: 16
; WaveLimiterHint : 1
; COMPUTE_PGM_RSRC2:SCRATCH_EN: 0
; COMPUTE_PGM_RSRC2:USER_SGPR: 13
; COMPUTE_PGM_RSRC2:TRAP_HANDLER: 0
; COMPUTE_PGM_RSRC2:TGID_X_EN: 1
; COMPUTE_PGM_RSRC2:TGID_Y_EN: 1
; COMPUTE_PGM_RSRC2:TGID_Z_EN: 1
; COMPUTE_PGM_RSRC2:TIDIG_COMP_CNT: 0
	.section	.text._ZL10k_get_rowsILi32ELi2EXadL_ZL15dequantize_q5_0PKvliR15HIP_vector_typeIfLj2EEEEfEvS1_PKiPT2_llS2_IjLj3EEmmmmmmmmm,"axG",@progbits,_ZL10k_get_rowsILi32ELi2EXadL_ZL15dequantize_q5_0PKvliR15HIP_vector_typeIfLj2EEEEfEvS1_PKiPT2_llS2_IjLj3EEmmmmmmmmm,comdat
	.globl	_ZL10k_get_rowsILi32ELi2EXadL_ZL15dequantize_q5_0PKvliR15HIP_vector_typeIfLj2EEEEfEvS1_PKiPT2_llS2_IjLj3EEmmmmmmmmm ; -- Begin function _ZL10k_get_rowsILi32ELi2EXadL_ZL15dequantize_q5_0PKvliR15HIP_vector_typeIfLj2EEEEfEvS1_PKiPT2_llS2_IjLj3EEmmmmmmmmm
	.p2align	8
	.type	_ZL10k_get_rowsILi32ELi2EXadL_ZL15dequantize_q5_0PKvliR15HIP_vector_typeIfLj2EEEEfEvS1_PKiPT2_llS2_IjLj3EEmmmmmmmmm,@function
_ZL10k_get_rowsILi32ELi2EXadL_ZL15dequantize_q5_0PKvliR15HIP_vector_typeIfLj2EEEEfEvS1_PKiPT2_llS2_IjLj3EEmmmmmmmmm: ; @_ZL10k_get_rowsILi32ELi2EXadL_ZL15dequantize_q5_0PKvliR15HIP_vector_typeIfLj2EEEEfEvS1_PKiPT2_llS2_IjLj3EEmmmmmmmmm
; %bb.0:
	s_clause 0x1
	s_load_b128 s[4:7], s[0:1], 0x18
	s_load_b64 s[36:37], s[0:1], 0x2c
	s_mov_b32 s34, s15
	s_mov_b32 s35, 0
	s_waitcnt lgkmcnt(0)
	s_mul_i32 s2, s37, s7
	s_mul_hi_u32 s3, s37, s6
	s_mul_i32 s6, s37, s6
	s_add_i32 s7, s3, s2
	s_delay_alu instid0(SALU_CYCLE_1) | instskip(NEXT) | instid1(VALU_DEP_1)
	v_cmp_le_i64_e64 s2, s[6:7], s[34:35]
	s_and_b32 vcc_lo, exec_lo, s2
	s_cbranch_vccnz .LBB7_6
; %bb.1:
	s_clause 0x5
	s_load_b64 s[38:39], s[0:1], 0x88
	s_load_b512 s[16:31], s[0:1], 0x38
	s_load_b64 s[40:41], s[0:1], 0x78
	s_load_b128 s[8:11], s[0:1], 0x0
	s_load_b64 s[44:45], s[0:1], 0x10
	s_load_b32 s3, s[0:1], 0x28
	s_add_u32 s42, s0, 0x80
	s_addc_u32 s43, s1, 0
	s_ashr_i32 s1, s13, 31
	v_mov_b32_e32 v1, 0
	s_waitcnt lgkmcnt(0)
	s_and_b32 s33, s39, 0xffff
	s_mul_i32 s2, s13, s29
	s_mul_hi_u32 s12, s13, s28
	s_mul_i32 s15, s1, s28
	s_mul_i32 s39, s1, s16
	s_add_i32 s1, s12, s2
	s_mul_i32 s0, s13, s28
	s_add_i32 s1, s1, s15
	s_mul_i32 s14, s14, s33
	s_lshl_b64 s[0:1], s[0:1], 2
	s_mul_i32 s28, s13, s17
	s_mul_hi_u32 s29, s13, s16
	v_add_lshl_u32 v0, s14, v0, 1
	s_mul_i32 s12, s13, s16
	s_add_u32 s16, s10, s0
	s_addc_u32 s17, s11, s1
	s_add_i32 s1, s29, s28
	v_cmp_gt_i64_e64 s0, s[4:5], v[0:1]
	s_add_i32 s13, s1, s39
	v_lshlrev_b64 v[2:3], 27, v[0:1]
	s_lshl_b64 s[10:11], s[12:13], 2
	s_delay_alu instid0(SALU_CYCLE_1)
	s_add_u32 s28, s44, s10
	s_addc_u32 s29, s45, s11
	s_mov_b64 s[10:11], s[34:35]
	s_branch .LBB7_3
.LBB7_2:                                ;   in Loop: Header=BB7_3 Depth=1
	s_or_b32 exec_lo, exec_lo, s39
	s_add_u32 s10, s10, s38
	s_addc_u32 s11, s11, 0
	s_delay_alu instid0(SALU_CYCLE_1) | instskip(NEXT) | instid1(VALU_DEP_1)
	v_cmp_ge_i64_e64 s1, s[10:11], s[6:7]
	s_and_b32 vcc_lo, exec_lo, s1
	s_cbranch_vccnz .LBB7_6
.LBB7_3:                                ; =>This Loop Header: Depth=1
                                        ;     Child Loop BB7_5 Depth 2
	s_and_saveexec_b32 s39, s0
	s_cbranch_execz .LBB7_2
; %bb.4:                                ;   in Loop: Header=BB7_3 Depth=1
	s_mul_hi_u32 s1, s10, s3
	v_dual_mov_b32 v5, v3 :: v_dual_mov_b32 v4, v2
	s_add_i32 s1, s1, s10
	v_dual_mov_b32 v7, v1 :: v_dual_mov_b32 v6, v0
	s_lshr_b32 s1, s1, s36
	s_delay_alu instid0(SALU_CYCLE_1)
	s_mul_i32 s2, s1, s37
	s_mul_i32 s12, s1, s31
	s_mul_hi_u32 s13, s1, s30
	s_ashr_i32 s34, s1, 31
	s_add_i32 s12, s13, s12
	s_mul_i32 s13, s34, s30
	s_sub_i32 s2, s10, s2
	s_add_i32 s13, s12, s13
	s_mul_i32 s12, s2, s41
	s_mul_hi_u32 s14, s2, s40
	s_ashr_i32 s46, s2, 31
	s_add_i32 s14, s14, s12
	s_mul_i32 s12, s1, s30
	s_mul_i32 s15, s46, s40
	s_lshl_b64 s[12:13], s[12:13], 2
	s_add_i32 s15, s14, s15
	s_mul_i32 s14, s2, s40
	s_add_u32 s44, s16, s12
	s_addc_u32 s45, s17, s13
	s_lshl_b64 s[12:13], s[14:15], 2
	s_mul_hi_u32 s14, s1, s18
	s_add_u32 s12, s44, s12
	s_addc_u32 s13, s45, s13
	s_load_b32 s47, s[12:13], 0x0
	s_load_b32 s48, s[42:43], 0x4
	s_mul_i32 s13, s1, s19
	s_mul_i32 s15, s34, s18
	s_add_i32 s13, s14, s13
	s_mul_i32 s12, s1, s18
	s_add_i32 s13, s13, s15
	s_mul_i32 s44, s2, s21
	s_lshl_b64 s[12:13], s[12:13], 2
	s_mul_hi_u32 s45, s2, s20
	s_mul_i32 s15, s46, s20
	s_mul_i32 s14, s2, s20
	s_mul_i32 s49, s1, s25
	s_mul_i32 s34, s34, s24
	s_mul_i32 s46, s46, s26
	s_waitcnt lgkmcnt(0)
	s_ashr_i32 s50, s47, 31
	s_add_u32 s51, s28, s12
	s_addc_u32 s52, s29, s13
	s_add_i32 s12, s45, s44
	s_mul_i32 s53, s47, s23
	s_add_i32 s15, s12, s15
	s_mul_hi_u32 s54, s47, s22
	s_lshl_b64 s[12:13], s[14:15], 2
	s_mul_i32 s50, s50, s22
	s_add_u32 s44, s51, s12
	s_addc_u32 s45, s52, s13
	s_add_i32 s12, s54, s53
	s_mul_i32 s47, s47, s22
	s_add_i32 s12, s12, s50
	s_mul_hi_u32 s14, s1, s24
	s_add_u32 s13, s8, s47
	s_addc_u32 s12, s9, s12
	s_add_i32 s14, s14, s49
	s_mul_i32 s1, s1, s24
	s_add_i32 s14, s14, s34
	s_add_u32 s1, s13, s1
	s_mul_i32 s13, s2, s27
	s_mul_hi_u32 s15, s2, s26
	s_addc_u32 s14, s12, s14
	s_add_i32 s12, s15, s13
	s_mul_i32 s2, s2, s26
	s_add_i32 s13, s12, s46
	s_mul_i32 s34, s48, s33
	s_add_u32 s12, s1, s2
	s_addc_u32 s13, s14, s13
	s_lshl_b64 s[14:15], s[34:35], 27
	s_mov_b32 s46, 0
.LBB7_5:                                ;   Parent Loop BB7_3 Depth=1
                                        ; =>  This Inner Loop Header: Depth=2
	v_mad_i64_i32 v[8:9], null, v5, 22, s[12:13]
	v_bfe_u32 v10, v6, 1, 4
	s_clause 0x1
	global_load_b32 v11, v[8:9], off
	global_load_u16 v12, v[8:9], off offset:4
	v_add_co_u32 v8, vcc_lo, v8, v10
	v_add_co_ci_u32_e32 v9, vcc_lo, 0, v9, vcc_lo
	v_add_co_u32 v4, vcc_lo, v4, s14
	v_add_co_ci_u32_e32 v5, vcc_lo, s15, v5, vcc_lo
	global_load_u8 v13, v[8:9], off offset:6
	v_and_or_b32 v8, 0xffffffe0, v6, v10
	v_add_co_u32 v6, s1, v6, s34
	s_delay_alu instid0(VALU_DEP_1) | instskip(NEXT) | instid1(VALU_DEP_3)
	v_add_co_ci_u32_e64 v7, s1, 0, v7, s1
	v_ashrrev_i32_e32 v9, 31, v8
	s_delay_alu instid0(VALU_DEP_2) | instskip(NEXT) | instid1(VALU_DEP_2)
	v_cmp_le_i64_e64 s1, s[4:5], v[6:7]
	v_lshlrev_b64 v[8:9], 2, v[8:9]
	s_delay_alu instid0(VALU_DEP_2) | instskip(NEXT) | instid1(VALU_DEP_1)
	s_or_b32 s46, s1, s46
	v_add_co_u32 v8, s2, s44, v8
	s_delay_alu instid0(VALU_DEP_1) | instskip(SKIP_4) | instid1(VALU_DEP_3)
	v_add_co_ci_u32_e64 v9, s2, s45, v9, s2
	s_waitcnt vmcnt(1)
	v_perm_b32 v12, v11, v12, 0x1000706
	v_cvt_f32_f16_e32 v11, v11
	v_add_nc_u32_e32 v14, 12, v10
	v_lshrrev_b32_e32 v10, v10, v12
	s_delay_alu instid0(VALU_DEP_2) | instskip(SKIP_2) | instid1(VALU_DEP_3)
	v_lshrrev_b32_e32 v12, v14, v12
	s_waitcnt vmcnt(0)
	v_lshrrev_b16 v15, 4, v13
	v_lshlrev_b32_e32 v10, 4, v10
	v_or_b32_e32 v13, -16, v13
	v_and_b32_e32 v12, 16, v12
	s_delay_alu instid0(VALU_DEP_4) | instskip(NEXT) | instid1(VALU_DEP_4)
	v_or_b32_e32 v14, -16, v15
	v_and_b32_e32 v10, 16, v10
	s_delay_alu instid0(VALU_DEP_2) | instskip(NEXT) | instid1(VALU_DEP_2)
	v_bfe_i32 v14, v14, 0, 16
	v_add_nc_u32_e32 v10, v13, v10
	s_delay_alu instid0(VALU_DEP_2) | instskip(NEXT) | instid1(VALU_DEP_2)
	v_add_nc_u32_e32 v12, v12, v14
	v_cvt_f32_i32_e32 v10, v10
	s_delay_alu instid0(VALU_DEP_2) | instskip(NEXT) | instid1(VALU_DEP_2)
	v_cvt_f32_i32_e32 v12, v12
	v_mul_f32_e32 v10, v11, v10
	s_delay_alu instid0(VALU_DEP_2)
	v_mul_f32_e32 v11, v11, v12
	s_clause 0x1
	global_store_b32 v[8:9], v10, off
	global_store_b32 v[8:9], v11, off offset:64
	s_and_not1_b32 exec_lo, exec_lo, s46
	s_cbranch_execnz .LBB7_5
	s_branch .LBB7_2
.LBB7_6:
	s_nop 0
	s_sendmsg sendmsg(MSG_DEALLOC_VGPRS)
	s_endpgm
	.section	.rodata,"a",@progbits
	.p2align	6, 0x0
	.amdhsa_kernel _ZL10k_get_rowsILi32ELi2EXadL_ZL15dequantize_q5_0PKvliR15HIP_vector_typeIfLj2EEEEfEvS1_PKiPT2_llS2_IjLj3EEmmmmmmmmm
		.amdhsa_group_segment_fixed_size 0
		.amdhsa_private_segment_fixed_size 0
		.amdhsa_kernarg_size 384
		.amdhsa_user_sgpr_count 13
		.amdhsa_user_sgpr_dispatch_ptr 0
		.amdhsa_user_sgpr_queue_ptr 0
		.amdhsa_user_sgpr_kernarg_segment_ptr 1
		.amdhsa_user_sgpr_dispatch_id 0
		.amdhsa_user_sgpr_private_segment_size 0
		.amdhsa_wavefront_size32 1
		.amdhsa_uses_dynamic_stack 0
		.amdhsa_enable_private_segment 0
		.amdhsa_system_sgpr_workgroup_id_x 1
		.amdhsa_system_sgpr_workgroup_id_y 1
		.amdhsa_system_sgpr_workgroup_id_z 1
		.amdhsa_system_sgpr_workgroup_info 0
		.amdhsa_system_vgpr_workitem_id 0
		.amdhsa_next_free_vgpr 16
		.amdhsa_next_free_sgpr 55
		.amdhsa_reserve_vcc 1
		.amdhsa_float_round_mode_32 0
		.amdhsa_float_round_mode_16_64 0
		.amdhsa_float_denorm_mode_32 3
		.amdhsa_float_denorm_mode_16_64 3
		.amdhsa_dx10_clamp 1
		.amdhsa_ieee_mode 1
		.amdhsa_fp16_overflow 0
		.amdhsa_workgroup_processor_mode 1
		.amdhsa_memory_ordered 1
		.amdhsa_forward_progress 0
		.amdhsa_shared_vgpr_count 0
		.amdhsa_exception_fp_ieee_invalid_op 0
		.amdhsa_exception_fp_denorm_src 0
		.amdhsa_exception_fp_ieee_div_zero 0
		.amdhsa_exception_fp_ieee_overflow 0
		.amdhsa_exception_fp_ieee_underflow 0
		.amdhsa_exception_fp_ieee_inexact 0
		.amdhsa_exception_int_div_zero 0
	.end_amdhsa_kernel
	.section	.text._ZL10k_get_rowsILi32ELi2EXadL_ZL15dequantize_q5_0PKvliR15HIP_vector_typeIfLj2EEEEfEvS1_PKiPT2_llS2_IjLj3EEmmmmmmmmm,"axG",@progbits,_ZL10k_get_rowsILi32ELi2EXadL_ZL15dequantize_q5_0PKvliR15HIP_vector_typeIfLj2EEEEfEvS1_PKiPT2_llS2_IjLj3EEmmmmmmmmm,comdat
.Lfunc_end7:
	.size	_ZL10k_get_rowsILi32ELi2EXadL_ZL15dequantize_q5_0PKvliR15HIP_vector_typeIfLj2EEEEfEvS1_PKiPT2_llS2_IjLj3EEmmmmmmmmm, .Lfunc_end7-_ZL10k_get_rowsILi32ELi2EXadL_ZL15dequantize_q5_0PKvliR15HIP_vector_typeIfLj2EEEEfEvS1_PKiPT2_llS2_IjLj3EEmmmmmmmmm
                                        ; -- End function
	.section	.AMDGPU.csdata,"",@progbits
; Kernel info:
; codeLenInByte = 944
; NumSgprs: 57
; NumVgprs: 16
; ScratchSize: 0
; MemoryBound: 0
; FloatMode: 240
; IeeeMode: 1
; LDSByteSize: 0 bytes/workgroup (compile time only)
; SGPRBlocks: 7
; VGPRBlocks: 1
; NumSGPRsForWavesPerEU: 57
; NumVGPRsForWavesPerEU: 16
; Occupancy: 16
; WaveLimiterHint : 1
; COMPUTE_PGM_RSRC2:SCRATCH_EN: 0
; COMPUTE_PGM_RSRC2:USER_SGPR: 13
; COMPUTE_PGM_RSRC2:TRAP_HANDLER: 0
; COMPUTE_PGM_RSRC2:TGID_X_EN: 1
; COMPUTE_PGM_RSRC2:TGID_Y_EN: 1
; COMPUTE_PGM_RSRC2:TGID_Z_EN: 1
; COMPUTE_PGM_RSRC2:TIDIG_COMP_CNT: 0
	.section	.text._ZL10k_get_rowsILi32ELi2EXadL_ZL15dequantize_q5_1PKvliR15HIP_vector_typeIfLj2EEEEfEvS1_PKiPT2_llS2_IjLj3EEmmmmmmmmm,"axG",@progbits,_ZL10k_get_rowsILi32ELi2EXadL_ZL15dequantize_q5_1PKvliR15HIP_vector_typeIfLj2EEEEfEvS1_PKiPT2_llS2_IjLj3EEmmmmmmmmm,comdat
	.globl	_ZL10k_get_rowsILi32ELi2EXadL_ZL15dequantize_q5_1PKvliR15HIP_vector_typeIfLj2EEEEfEvS1_PKiPT2_llS2_IjLj3EEmmmmmmmmm ; -- Begin function _ZL10k_get_rowsILi32ELi2EXadL_ZL15dequantize_q5_1PKvliR15HIP_vector_typeIfLj2EEEEfEvS1_PKiPT2_llS2_IjLj3EEmmmmmmmmm
	.p2align	8
	.type	_ZL10k_get_rowsILi32ELi2EXadL_ZL15dequantize_q5_1PKvliR15HIP_vector_typeIfLj2EEEEfEvS1_PKiPT2_llS2_IjLj3EEmmmmmmmmm,@function
_ZL10k_get_rowsILi32ELi2EXadL_ZL15dequantize_q5_1PKvliR15HIP_vector_typeIfLj2EEEEfEvS1_PKiPT2_llS2_IjLj3EEmmmmmmmmm: ; @_ZL10k_get_rowsILi32ELi2EXadL_ZL15dequantize_q5_1PKvliR15HIP_vector_typeIfLj2EEEEfEvS1_PKiPT2_llS2_IjLj3EEmmmmmmmmm
; %bb.0:
	s_clause 0x1
	s_load_b128 s[4:7], s[0:1], 0x18
	s_load_b64 s[36:37], s[0:1], 0x2c
	s_mov_b32 s34, s15
	s_mov_b32 s35, 0
	s_waitcnt lgkmcnt(0)
	s_mul_i32 s2, s37, s7
	s_mul_hi_u32 s3, s37, s6
	s_mul_i32 s6, s37, s6
	s_add_i32 s7, s3, s2
	s_delay_alu instid0(SALU_CYCLE_1) | instskip(NEXT) | instid1(VALU_DEP_1)
	v_cmp_le_i64_e64 s2, s[6:7], s[34:35]
	s_and_b32 vcc_lo, exec_lo, s2
	s_cbranch_vccnz .LBB8_6
; %bb.1:
	s_clause 0x5
	s_load_b64 s[38:39], s[0:1], 0x88
	s_load_b512 s[16:31], s[0:1], 0x38
	s_load_b64 s[40:41], s[0:1], 0x78
	s_load_b128 s[8:11], s[0:1], 0x0
	s_load_b64 s[44:45], s[0:1], 0x10
	s_load_b32 s3, s[0:1], 0x28
	s_add_u32 s42, s0, 0x80
	s_addc_u32 s43, s1, 0
	s_ashr_i32 s1, s13, 31
	v_mov_b32_e32 v1, 0
	s_waitcnt lgkmcnt(0)
	s_and_b32 s33, s39, 0xffff
	s_mul_i32 s2, s13, s29
	s_mul_hi_u32 s12, s13, s28
	s_mul_i32 s15, s1, s28
	s_mul_i32 s39, s1, s16
	s_add_i32 s1, s12, s2
	s_mul_i32 s0, s13, s28
	s_add_i32 s1, s1, s15
	s_mul_i32 s14, s14, s33
	s_lshl_b64 s[0:1], s[0:1], 2
	s_mul_i32 s28, s13, s17
	s_mul_hi_u32 s29, s13, s16
	v_add_lshl_u32 v0, s14, v0, 1
	s_mul_i32 s12, s13, s16
	s_add_u32 s16, s10, s0
	s_addc_u32 s17, s11, s1
	s_add_i32 s1, s29, s28
	v_cmp_gt_i64_e64 s0, s[4:5], v[0:1]
	s_add_i32 s13, s1, s39
	v_lshlrev_b64 v[2:3], 27, v[0:1]
	s_lshl_b64 s[10:11], s[12:13], 2
	s_delay_alu instid0(SALU_CYCLE_1)
	s_add_u32 s28, s44, s10
	s_addc_u32 s29, s45, s11
	s_mov_b64 s[10:11], s[34:35]
	s_branch .LBB8_3
.LBB8_2:                                ;   in Loop: Header=BB8_3 Depth=1
	s_or_b32 exec_lo, exec_lo, s39
	s_add_u32 s10, s10, s38
	s_addc_u32 s11, s11, 0
	s_delay_alu instid0(SALU_CYCLE_1) | instskip(NEXT) | instid1(VALU_DEP_1)
	v_cmp_ge_i64_e64 s1, s[10:11], s[6:7]
	s_and_b32 vcc_lo, exec_lo, s1
	s_cbranch_vccnz .LBB8_6
.LBB8_3:                                ; =>This Loop Header: Depth=1
                                        ;     Child Loop BB8_5 Depth 2
	s_and_saveexec_b32 s39, s0
	s_cbranch_execz .LBB8_2
; %bb.4:                                ;   in Loop: Header=BB8_3 Depth=1
	s_mul_hi_u32 s1, s10, s3
	v_dual_mov_b32 v5, v3 :: v_dual_mov_b32 v4, v2
	s_add_i32 s1, s1, s10
	v_dual_mov_b32 v7, v1 :: v_dual_mov_b32 v6, v0
	s_lshr_b32 s1, s1, s36
	s_delay_alu instid0(SALU_CYCLE_1)
	s_mul_i32 s2, s1, s37
	s_mul_i32 s12, s1, s31
	s_mul_hi_u32 s13, s1, s30
	s_ashr_i32 s34, s1, 31
	s_add_i32 s12, s13, s12
	s_mul_i32 s13, s34, s30
	s_sub_i32 s2, s10, s2
	s_add_i32 s13, s12, s13
	s_mul_i32 s12, s2, s41
	s_mul_hi_u32 s14, s2, s40
	s_ashr_i32 s46, s2, 31
	s_add_i32 s14, s14, s12
	s_mul_i32 s12, s1, s30
	s_mul_i32 s15, s46, s40
	s_lshl_b64 s[12:13], s[12:13], 2
	s_add_i32 s15, s14, s15
	s_mul_i32 s14, s2, s40
	s_add_u32 s44, s16, s12
	s_addc_u32 s45, s17, s13
	s_lshl_b64 s[12:13], s[14:15], 2
	s_mul_hi_u32 s14, s1, s18
	s_add_u32 s12, s44, s12
	s_addc_u32 s13, s45, s13
	s_load_b32 s47, s[12:13], 0x0
	s_load_b32 s48, s[42:43], 0x4
	s_mul_i32 s13, s1, s19
	s_mul_i32 s15, s34, s18
	s_add_i32 s13, s14, s13
	s_mul_i32 s12, s1, s18
	s_add_i32 s13, s13, s15
	s_mul_i32 s44, s2, s21
	s_lshl_b64 s[12:13], s[12:13], 2
	s_mul_hi_u32 s45, s2, s20
	s_mul_i32 s15, s46, s20
	s_mul_i32 s14, s2, s20
	;; [unrolled: 1-line block ×5, first 2 shown]
	s_waitcnt lgkmcnt(0)
	s_ashr_i32 s50, s47, 31
	s_add_u32 s51, s28, s12
	s_addc_u32 s52, s29, s13
	s_add_i32 s12, s45, s44
	s_mul_i32 s53, s47, s23
	s_add_i32 s15, s12, s15
	s_mul_hi_u32 s54, s47, s22
	s_lshl_b64 s[12:13], s[14:15], 2
	s_mul_i32 s50, s50, s22
	s_add_u32 s44, s51, s12
	s_addc_u32 s45, s52, s13
	s_add_i32 s12, s54, s53
	s_mul_i32 s47, s47, s22
	s_add_i32 s12, s12, s50
	s_mul_hi_u32 s14, s1, s24
	s_add_u32 s13, s8, s47
	s_addc_u32 s12, s9, s12
	s_add_i32 s14, s14, s49
	s_mul_i32 s1, s1, s24
	s_add_i32 s14, s14, s34
	s_add_u32 s1, s13, s1
	s_mul_i32 s13, s2, s27
	s_mul_hi_u32 s15, s2, s26
	s_addc_u32 s14, s12, s14
	s_add_i32 s12, s15, s13
	s_mul_i32 s2, s2, s26
	s_add_i32 s13, s12, s46
	s_mul_i32 s34, s48, s33
	s_add_u32 s12, s1, s2
	s_addc_u32 s13, s14, s13
	s_lshl_b64 s[14:15], s[34:35], 27
	s_mov_b32 s46, 0
.LBB8_5:                                ;   Parent Loop BB8_3 Depth=1
                                        ; =>  This Inner Loop Header: Depth=2
	v_mad_i64_i32 v[8:9], null, v5, 24, s[12:13]
	v_bfe_u32 v13, v6, 1, 4
	s_clause 0x2
	global_load_u16 v10, v[8:9], off offset:6
	global_load_b32 v11, v[8:9], off
	global_load_u16 v12, v[8:9], off offset:4
	v_add_co_u32 v8, vcc_lo, v8, v13
	v_add_co_ci_u32_e32 v9, vcc_lo, 0, v9, vcc_lo
	v_add_co_u32 v4, vcc_lo, v4, s14
	v_add_co_ci_u32_e32 v5, vcc_lo, s15, v5, vcc_lo
	global_load_u8 v14, v[8:9], off offset:8
	v_and_or_b32 v8, 0xffffffe0, v6, v13
	v_add_co_u32 v6, s1, v6, s34
	s_delay_alu instid0(VALU_DEP_1) | instskip(NEXT) | instid1(VALU_DEP_1)
	v_add_co_ci_u32_e64 v7, s1, 0, v7, s1
	v_cmp_le_i64_e64 s1, s[4:5], v[6:7]
	s_delay_alu instid0(VALU_DEP_1) | instskip(SKIP_3) | instid1(VALU_DEP_2)
	s_or_b32 s46, s1, s46
	s_waitcnt vmcnt(3)
	v_lshrrev_b16 v9, 8, v10
	v_and_b32_e32 v10, 0xff, v10
	v_lshlrev_b32_e32 v9, 24, v9
	s_delay_alu instid0(VALU_DEP_2) | instskip(SKIP_2) | instid1(VALU_DEP_2)
	v_lshlrev_b32_e32 v10, 16, v10
	s_waitcnt vmcnt(0)
	v_and_b32_e32 v15, 15, v14
	v_or3_b32 v10, v10, v12, v9
	v_add_nc_u32_e32 v12, 12, v13
	v_lshrrev_b16 v14, 4, v14
	v_ashrrev_i32_e32 v9, 31, v8
	s_delay_alu instid0(VALU_DEP_4) | instskip(NEXT) | instid1(VALU_DEP_4)
	v_lshrrev_b32_e32 v13, v13, v10
	v_lshrrev_b32_e32 v10, v12, v10
	s_delay_alu instid0(VALU_DEP_3) | instskip(NEXT) | instid1(VALU_DEP_3)
	v_lshlrev_b64 v[8:9], 2, v[8:9]
	v_lshlrev_b32_e32 v12, 4, v13
	s_delay_alu instid0(VALU_DEP_3) | instskip(NEXT) | instid1(VALU_DEP_3)
	v_and_or_b32 v10, v10, 16, v14
	v_add_co_u32 v8, s2, s44, v8
	s_delay_alu instid0(VALU_DEP_3) | instskip(NEXT) | instid1(VALU_DEP_3)
	v_and_or_b32 v12, v12, 16, v15
	v_cvt_f32_ubyte0_e32 v10, v10
	v_add_co_ci_u32_e64 v9, s2, s45, v9, s2
	s_delay_alu instid0(VALU_DEP_3) | instskip(NEXT) | instid1(VALU_DEP_3)
	v_cvt_f32_ubyte0_e32 v12, v12
	v_fma_mix_f32 v10, v11, v10, v11 op_sel:[0,0,1] op_sel_hi:[1,0,1]
	s_delay_alu instid0(VALU_DEP_2)
	v_fma_mix_f32 v11, v11, v12, v11 op_sel:[0,0,1] op_sel_hi:[1,0,1]
	s_clause 0x1
	global_store_b32 v[8:9], v11, off
	global_store_b32 v[8:9], v10, off offset:64
	s_and_not1_b32 exec_lo, exec_lo, s46
	s_cbranch_execnz .LBB8_5
	s_branch .LBB8_2
.LBB8_6:
	s_nop 0
	s_sendmsg sendmsg(MSG_DEALLOC_VGPRS)
	s_endpgm
	.section	.rodata,"a",@progbits
	.p2align	6, 0x0
	.amdhsa_kernel _ZL10k_get_rowsILi32ELi2EXadL_ZL15dequantize_q5_1PKvliR15HIP_vector_typeIfLj2EEEEfEvS1_PKiPT2_llS2_IjLj3EEmmmmmmmmm
		.amdhsa_group_segment_fixed_size 0
		.amdhsa_private_segment_fixed_size 0
		.amdhsa_kernarg_size 384
		.amdhsa_user_sgpr_count 13
		.amdhsa_user_sgpr_dispatch_ptr 0
		.amdhsa_user_sgpr_queue_ptr 0
		.amdhsa_user_sgpr_kernarg_segment_ptr 1
		.amdhsa_user_sgpr_dispatch_id 0
		.amdhsa_user_sgpr_private_segment_size 0
		.amdhsa_wavefront_size32 1
		.amdhsa_uses_dynamic_stack 0
		.amdhsa_enable_private_segment 0
		.amdhsa_system_sgpr_workgroup_id_x 1
		.amdhsa_system_sgpr_workgroup_id_y 1
		.amdhsa_system_sgpr_workgroup_id_z 1
		.amdhsa_system_sgpr_workgroup_info 0
		.amdhsa_system_vgpr_workitem_id 0
		.amdhsa_next_free_vgpr 16
		.amdhsa_next_free_sgpr 55
		.amdhsa_reserve_vcc 1
		.amdhsa_float_round_mode_32 0
		.amdhsa_float_round_mode_16_64 0
		.amdhsa_float_denorm_mode_32 3
		.amdhsa_float_denorm_mode_16_64 3
		.amdhsa_dx10_clamp 1
		.amdhsa_ieee_mode 1
		.amdhsa_fp16_overflow 0
		.amdhsa_workgroup_processor_mode 1
		.amdhsa_memory_ordered 1
		.amdhsa_forward_progress 0
		.amdhsa_shared_vgpr_count 0
		.amdhsa_exception_fp_ieee_invalid_op 0
		.amdhsa_exception_fp_denorm_src 0
		.amdhsa_exception_fp_ieee_div_zero 0
		.amdhsa_exception_fp_ieee_overflow 0
		.amdhsa_exception_fp_ieee_underflow 0
		.amdhsa_exception_fp_ieee_inexact 0
		.amdhsa_exception_int_div_zero 0
	.end_amdhsa_kernel
	.section	.text._ZL10k_get_rowsILi32ELi2EXadL_ZL15dequantize_q5_1PKvliR15HIP_vector_typeIfLj2EEEEfEvS1_PKiPT2_llS2_IjLj3EEmmmmmmmmm,"axG",@progbits,_ZL10k_get_rowsILi32ELi2EXadL_ZL15dequantize_q5_1PKvliR15HIP_vector_typeIfLj2EEEEfEvS1_PKiPT2_llS2_IjLj3EEmmmmmmmmm,comdat
.Lfunc_end8:
	.size	_ZL10k_get_rowsILi32ELi2EXadL_ZL15dequantize_q5_1PKvliR15HIP_vector_typeIfLj2EEEEfEvS1_PKiPT2_llS2_IjLj3EEmmmmmmmmm, .Lfunc_end8-_ZL10k_get_rowsILi32ELi2EXadL_ZL15dequantize_q5_1PKvliR15HIP_vector_typeIfLj2EEEEfEvS1_PKiPT2_llS2_IjLj3EEmmmmmmmmm
                                        ; -- End function
	.section	.AMDGPU.csdata,"",@progbits
; Kernel info:
; codeLenInByte = 960
; NumSgprs: 57
; NumVgprs: 16
; ScratchSize: 0
; MemoryBound: 0
; FloatMode: 240
; IeeeMode: 1
; LDSByteSize: 0 bytes/workgroup (compile time only)
; SGPRBlocks: 7
; VGPRBlocks: 1
; NumSGPRsForWavesPerEU: 57
; NumVGPRsForWavesPerEU: 16
; Occupancy: 16
; WaveLimiterHint : 1
; COMPUTE_PGM_RSRC2:SCRATCH_EN: 0
; COMPUTE_PGM_RSRC2:USER_SGPR: 13
; COMPUTE_PGM_RSRC2:TRAP_HANDLER: 0
; COMPUTE_PGM_RSRC2:TGID_X_EN: 1
; COMPUTE_PGM_RSRC2:TGID_Y_EN: 1
; COMPUTE_PGM_RSRC2:TGID_Z_EN: 1
; COMPUTE_PGM_RSRC2:TIDIG_COMP_CNT: 0
	.section	.text._ZL10k_get_rowsILi32ELi1EXadL_ZL15dequantize_q8_0PKvliR15HIP_vector_typeIfLj2EEEEfEvS1_PKiPT2_llS2_IjLj3EEmmmmmmmmm,"axG",@progbits,_ZL10k_get_rowsILi32ELi1EXadL_ZL15dequantize_q8_0PKvliR15HIP_vector_typeIfLj2EEEEfEvS1_PKiPT2_llS2_IjLj3EEmmmmmmmmm,comdat
	.globl	_ZL10k_get_rowsILi32ELi1EXadL_ZL15dequantize_q8_0PKvliR15HIP_vector_typeIfLj2EEEEfEvS1_PKiPT2_llS2_IjLj3EEmmmmmmmmm ; -- Begin function _ZL10k_get_rowsILi32ELi1EXadL_ZL15dequantize_q8_0PKvliR15HIP_vector_typeIfLj2EEEEfEvS1_PKiPT2_llS2_IjLj3EEmmmmmmmmm
	.p2align	8
	.type	_ZL10k_get_rowsILi32ELi1EXadL_ZL15dequantize_q8_0PKvliR15HIP_vector_typeIfLj2EEEEfEvS1_PKiPT2_llS2_IjLj3EEmmmmmmmmm,@function
_ZL10k_get_rowsILi32ELi1EXadL_ZL15dequantize_q8_0PKvliR15HIP_vector_typeIfLj2EEEEfEvS1_PKiPT2_llS2_IjLj3EEmmmmmmmmm: ; @_ZL10k_get_rowsILi32ELi1EXadL_ZL15dequantize_q8_0PKvliR15HIP_vector_typeIfLj2EEEEfEvS1_PKiPT2_llS2_IjLj3EEmmmmmmmmm
; %bb.0:
	s_clause 0x1
	s_load_b128 s[4:7], s[0:1], 0x18
	s_load_b64 s[36:37], s[0:1], 0x2c
	s_mov_b32 s34, s15
	s_mov_b32 s35, 0
	s_waitcnt lgkmcnt(0)
	s_mul_i32 s2, s37, s7
	s_mul_hi_u32 s3, s37, s6
	s_mul_i32 s6, s37, s6
	s_add_i32 s7, s3, s2
	s_delay_alu instid0(SALU_CYCLE_1) | instskip(NEXT) | instid1(VALU_DEP_1)
	v_cmp_le_i64_e64 s2, s[6:7], s[34:35]
	s_and_b32 vcc_lo, exec_lo, s2
	s_cbranch_vccnz .LBB9_6
; %bb.1:
	s_clause 0x5
	s_load_b64 s[38:39], s[0:1], 0x88
	s_load_b512 s[16:31], s[0:1], 0x38
	s_load_b64 s[40:41], s[0:1], 0x78
	s_load_b128 s[8:11], s[0:1], 0x0
	s_load_b64 s[44:45], s[0:1], 0x10
	s_load_b32 s3, s[0:1], 0x28
	s_add_u32 s42, s0, 0x80
	s_addc_u32 s43, s1, 0
	s_ashr_i32 s1, s13, 31
	v_mov_b32_e32 v1, 0
	s_waitcnt lgkmcnt(0)
	s_and_b32 s33, s39, 0xffff
	s_mul_i32 s2, s13, s29
	s_mul_hi_u32 s12, s13, s28
	s_mul_i32 s15, s1, s28
	s_mul_i32 s39, s1, s16
	s_add_i32 s1, s12, s2
	s_mul_i32 s0, s13, s28
	s_add_i32 s1, s1, s15
	s_mul_i32 s14, s14, s33
	s_lshl_b64 s[0:1], s[0:1], 2
	s_mul_i32 s28, s13, s17
	s_mul_hi_u32 s29, s13, s16
	v_add_lshl_u32 v0, s14, v0, 1
	s_mul_i32 s12, s13, s16
	s_add_u32 s16, s10, s0
	s_addc_u32 s17, s11, s1
	s_add_i32 s1, s29, s28
	v_cmp_gt_i64_e64 s0, s[4:5], v[0:1]
	s_add_i32 s13, s1, s39
	v_lshlrev_b64 v[4:5], 27, v[0:1]
	v_dual_mov_b32 v2, v1 :: v_dual_mov_b32 v3, v0
	s_lshl_b64 s[10:11], s[12:13], 2
	s_delay_alu instid0(SALU_CYCLE_1)
	s_add_u32 s28, s44, s10
	s_addc_u32 s29, s45, s11
	s_mov_b64 s[10:11], s[34:35]
	s_branch .LBB9_3
.LBB9_2:                                ;   in Loop: Header=BB9_3 Depth=1
	s_set_inst_prefetch_distance 0x2
	s_or_b32 exec_lo, exec_lo, s39
	s_add_u32 s10, s10, s38
	s_addc_u32 s11, s11, 0
	s_delay_alu instid0(SALU_CYCLE_1) | instskip(NEXT) | instid1(VALU_DEP_1)
	v_cmp_ge_i64_e64 s1, s[10:11], s[6:7]
	s_and_b32 vcc_lo, exec_lo, s1
	s_cbranch_vccnz .LBB9_6
.LBB9_3:                                ; =>This Loop Header: Depth=1
                                        ;     Child Loop BB9_5 Depth 2
	s_and_saveexec_b32 s39, s0
	s_cbranch_execz .LBB9_2
; %bb.4:                                ;   in Loop: Header=BB9_3 Depth=1
	s_mul_hi_u32 s1, s10, s3
	v_dual_mov_b32 v7, v3 :: v_dual_mov_b32 v6, v2
	s_add_i32 s1, s1, s10
	v_dual_mov_b32 v9, v5 :: v_dual_mov_b32 v8, v4
	s_lshr_b32 s1, s1, s36
	v_dual_mov_b32 v11, v1 :: v_dual_mov_b32 v10, v0
	s_mul_i32 s2, s1, s37
	s_mul_i32 s12, s1, s31
	s_mul_hi_u32 s13, s1, s30
	s_ashr_i32 s34, s1, 31
	s_add_i32 s12, s13, s12
	s_mul_i32 s13, s34, s30
	s_sub_i32 s2, s10, s2
	s_add_i32 s13, s12, s13
	s_mul_i32 s12, s2, s41
	s_mul_hi_u32 s14, s2, s40
	s_ashr_i32 s46, s2, 31
	s_add_i32 s14, s14, s12
	s_mul_i32 s12, s1, s30
	s_mul_i32 s15, s46, s40
	s_lshl_b64 s[12:13], s[12:13], 2
	s_add_i32 s15, s14, s15
	s_mul_i32 s14, s2, s40
	s_add_u32 s44, s16, s12
	s_addc_u32 s45, s17, s13
	s_lshl_b64 s[12:13], s[14:15], 2
	s_mul_hi_u32 s14, s1, s18
	s_add_u32 s12, s44, s12
	s_addc_u32 s13, s45, s13
	s_load_b32 s47, s[12:13], 0x0
	s_load_b32 s48, s[42:43], 0x4
	s_mul_i32 s13, s1, s19
	s_mul_i32 s15, s34, s18
	s_add_i32 s13, s14, s13
	s_mul_i32 s12, s1, s18
	s_add_i32 s13, s13, s15
	s_mul_i32 s44, s2, s21
	s_lshl_b64 s[12:13], s[12:13], 2
	s_mul_hi_u32 s45, s2, s20
	s_mul_i32 s15, s46, s20
	s_mul_i32 s14, s2, s20
	;; [unrolled: 1-line block ×5, first 2 shown]
	s_waitcnt lgkmcnt(0)
	s_ashr_i32 s50, s47, 31
	s_add_u32 s51, s28, s12
	s_addc_u32 s52, s29, s13
	s_add_i32 s12, s45, s44
	s_mul_i32 s53, s47, s23
	s_add_i32 s15, s12, s15
	s_mul_hi_u32 s54, s47, s22
	s_lshl_b64 s[12:13], s[14:15], 2
	s_mul_i32 s50, s50, s22
	s_add_u32 s44, s51, s12
	s_addc_u32 s45, s52, s13
	s_add_i32 s12, s54, s53
	s_mul_i32 s47, s47, s22
	s_add_i32 s12, s12, s50
	s_mul_hi_u32 s14, s1, s24
	s_add_u32 s13, s8, s47
	s_addc_u32 s12, s9, s12
	s_add_i32 s14, s14, s49
	s_mul_i32 s1, s1, s24
	s_add_i32 s14, s14, s34
	s_add_u32 s1, s13, s1
	s_mul_i32 s13, s2, s27
	s_mul_hi_u32 s15, s2, s26
	s_addc_u32 s14, s12, s14
	s_add_i32 s12, s15, s13
	s_mul_i32 s2, s2, s26
	s_add_i32 s13, s12, s46
	s_mul_i32 s34, s48, s33
	s_add_u32 s12, s1, s2
	s_addc_u32 s13, s14, s13
	s_lshl_b64 s[14:15], s[34:35], 27
	s_mov_b32 s46, 0
	s_mov_b32 s47, s34
	s_set_inst_prefetch_distance 0x1
	.p2align	6
.LBB9_5:                                ;   Parent Loop BB9_3 Depth=1
                                        ; =>  This Inner Loop Header: Depth=2
	v_mad_i64_i32 v[12:13], null, v9, 34, s[12:13]
	v_and_b32_e32 v14, 31, v10
	s_delay_alu instid0(VALU_DEP_1) | instskip(NEXT) | instid1(VALU_DEP_3)
	v_add_co_u32 v14, vcc_lo, v12, v14
	v_add_co_ci_u32_e32 v15, vcc_lo, 0, v13, vcc_lo
	v_add_co_u32 v10, vcc_lo, v10, s34
	s_clause 0x2
	global_load_u16 v16, v[12:13], off
	global_load_i8 v17, v[14:15], off offset:2
	global_load_i8 v14, v[14:15], off offset:3
	v_ashrrev_i64 v[12:13], 30, v[6:7]
	v_add_co_ci_u32_e32 v11, vcc_lo, 0, v11, vcc_lo
	v_add_co_u32 v8, vcc_lo, v8, s14
	v_add_co_ci_u32_e32 v9, vcc_lo, s15, v9, vcc_lo
	s_delay_alu instid0(VALU_DEP_3) | instskip(SKIP_2) | instid1(VALU_DEP_1)
	v_cmp_le_i64_e64 s1, s[4:5], v[10:11]
	v_add_co_u32 v6, vcc_lo, v6, 0
	v_add_co_u32 v12, s2, s44, v12
	v_add_co_ci_u32_e64 v13, s2, s45, v13, s2
	v_add_co_ci_u32_e32 v7, vcc_lo, s47, v7, vcc_lo
	s_or_b32 s46, s1, s46
	s_waitcnt vmcnt(2)
	v_cvt_f32_f16_e32 v15, v16
	s_waitcnt vmcnt(1)
	v_cvt_f32_i32_e32 v16, v17
	s_waitcnt vmcnt(0)
	v_cvt_f32_i32_e32 v17, v14
	s_delay_alu instid0(VALU_DEP_2) | instskip(NEXT) | instid1(VALU_DEP_2)
	v_mul_f32_e32 v14, v15, v16
	v_mul_f32_e32 v15, v15, v17
	global_store_b64 v[12:13], v[14:15], off
	s_and_not1_b32 exec_lo, exec_lo, s46
	s_cbranch_execnz .LBB9_5
	s_branch .LBB9_2
.LBB9_6:
	s_nop 0
	s_sendmsg sendmsg(MSG_DEALLOC_VGPRS)
	s_endpgm
	.section	.rodata,"a",@progbits
	.p2align	6, 0x0
	.amdhsa_kernel _ZL10k_get_rowsILi32ELi1EXadL_ZL15dequantize_q8_0PKvliR15HIP_vector_typeIfLj2EEEEfEvS1_PKiPT2_llS2_IjLj3EEmmmmmmmmm
		.amdhsa_group_segment_fixed_size 0
		.amdhsa_private_segment_fixed_size 0
		.amdhsa_kernarg_size 384
		.amdhsa_user_sgpr_count 13
		.amdhsa_user_sgpr_dispatch_ptr 0
		.amdhsa_user_sgpr_queue_ptr 0
		.amdhsa_user_sgpr_kernarg_segment_ptr 1
		.amdhsa_user_sgpr_dispatch_id 0
		.amdhsa_user_sgpr_private_segment_size 0
		.amdhsa_wavefront_size32 1
		.amdhsa_uses_dynamic_stack 0
		.amdhsa_enable_private_segment 0
		.amdhsa_system_sgpr_workgroup_id_x 1
		.amdhsa_system_sgpr_workgroup_id_y 1
		.amdhsa_system_sgpr_workgroup_id_z 1
		.amdhsa_system_sgpr_workgroup_info 0
		.amdhsa_system_vgpr_workitem_id 0
		.amdhsa_next_free_vgpr 18
		.amdhsa_next_free_sgpr 55
		.amdhsa_reserve_vcc 1
		.amdhsa_float_round_mode_32 0
		.amdhsa_float_round_mode_16_64 0
		.amdhsa_float_denorm_mode_32 3
		.amdhsa_float_denorm_mode_16_64 3
		.amdhsa_dx10_clamp 1
		.amdhsa_ieee_mode 1
		.amdhsa_fp16_overflow 0
		.amdhsa_workgroup_processor_mode 1
		.amdhsa_memory_ordered 1
		.amdhsa_forward_progress 0
		.amdhsa_shared_vgpr_count 0
		.amdhsa_exception_fp_ieee_invalid_op 0
		.amdhsa_exception_fp_denorm_src 0
		.amdhsa_exception_fp_ieee_div_zero 0
		.amdhsa_exception_fp_ieee_overflow 0
		.amdhsa_exception_fp_ieee_underflow 0
		.amdhsa_exception_fp_ieee_inexact 0
		.amdhsa_exception_int_div_zero 0
	.end_amdhsa_kernel
	.section	.text._ZL10k_get_rowsILi32ELi1EXadL_ZL15dequantize_q8_0PKvliR15HIP_vector_typeIfLj2EEEEfEvS1_PKiPT2_llS2_IjLj3EEmmmmmmmmm,"axG",@progbits,_ZL10k_get_rowsILi32ELi1EXadL_ZL15dequantize_q8_0PKvliR15HIP_vector_typeIfLj2EEEEfEvS1_PKiPT2_llS2_IjLj3EEmmmmmmmmm,comdat
.Lfunc_end9:
	.size	_ZL10k_get_rowsILi32ELi1EXadL_ZL15dequantize_q8_0PKvliR15HIP_vector_typeIfLj2EEEEfEvS1_PKiPT2_llS2_IjLj3EEmmmmmmmmm, .Lfunc_end9-_ZL10k_get_rowsILi32ELi1EXadL_ZL15dequantize_q8_0PKvliR15HIP_vector_typeIfLj2EEEEfEvS1_PKiPT2_llS2_IjLj3EEmmmmmmmmm
                                        ; -- End function
	.section	.AMDGPU.csdata,"",@progbits
; Kernel info:
; codeLenInByte = 852
; NumSgprs: 57
; NumVgprs: 18
; ScratchSize: 0
; MemoryBound: 0
; FloatMode: 240
; IeeeMode: 1
; LDSByteSize: 0 bytes/workgroup (compile time only)
; SGPRBlocks: 7
; VGPRBlocks: 2
; NumSGPRsForWavesPerEU: 57
; NumVGPRsForWavesPerEU: 18
; Occupancy: 16
; WaveLimiterHint : 1
; COMPUTE_PGM_RSRC2:SCRATCH_EN: 0
; COMPUTE_PGM_RSRC2:USER_SGPR: 13
; COMPUTE_PGM_RSRC2:TRAP_HANDLER: 0
; COMPUTE_PGM_RSRC2:TGID_X_EN: 1
; COMPUTE_PGM_RSRC2:TGID_Y_EN: 1
; COMPUTE_PGM_RSRC2:TGID_Z_EN: 1
; COMPUTE_PGM_RSRC2:TIDIG_COMP_CNT: 0
	.section	.text._ZL16k_get_rows_floatI6__halfiEvPKT_PKiPT0_ll15HIP_vector_typeIjLj3EEmmmmmmmmm,"axG",@progbits,_ZL16k_get_rows_floatI6__halfiEvPKT_PKiPT0_ll15HIP_vector_typeIjLj3EEmmmmmmmmm,comdat
	.globl	_ZL16k_get_rows_floatI6__halfiEvPKT_PKiPT0_ll15HIP_vector_typeIjLj3EEmmmmmmmmm ; -- Begin function _ZL16k_get_rows_floatI6__halfiEvPKT_PKiPT0_ll15HIP_vector_typeIjLj3EEmmmmmmmmm
	.p2align	8
	.type	_ZL16k_get_rows_floatI6__halfiEvPKT_PKiPT0_ll15HIP_vector_typeIjLj3EEmmmmmmmmm,@function
_ZL16k_get_rows_floatI6__halfiEvPKT_PKiPT0_ll15HIP_vector_typeIjLj3EEmmmmmmmmm: ; @_ZL16k_get_rows_floatI6__halfiEvPKT_PKiPT0_ll15HIP_vector_typeIjLj3EEmmmmmmmmm
; %bb.0:
	s_clause 0x1
	s_load_b64 s[4:5], s[0:1], 0x20
	s_load_b64 s[34:35], s[0:1], 0x2c
	s_mov_b32 s2, s15
	s_mov_b32 s3, 0
	s_waitcnt lgkmcnt(0)
	s_mul_i32 s5, s35, s5
	s_mul_hi_u32 s6, s35, s4
	s_mul_i32 s36, s35, s4
	s_add_i32 s37, s6, s5
	s_delay_alu instid0(SALU_CYCLE_1) | instskip(NEXT) | instid1(VALU_DEP_1)
	v_cmp_le_i64_e64 s4, s[36:37], s[2:3]
	s_and_b32 vcc_lo, exec_lo, s4
	s_cbranch_vccnz .LBB10_6
; %bb.1:
	s_clause 0x4
	s_load_b64 s[38:39], s[0:1], 0x88
	s_load_b512 s[16:31], s[0:1], 0x38
	s_load_b64 s[40:41], s[0:1], 0x78
	s_load_b256 s[4:11], s[0:1], 0x0
	s_load_b32 s33, s[0:1], 0x28
	s_add_u32 s42, s0, 0x80
	s_addc_u32 s43, s1, 0
	s_ashr_i32 s1, s13, 31
	s_waitcnt lgkmcnt(0)
	s_and_b32 s39, s39, 0xffff
	s_mul_i32 s12, s13, s29
	s_mul_hi_u32 s15, s13, s28
	s_mul_i32 s29, s1, s28
	s_mul_i32 s45, s16, s1
	s_add_i32 s1, s15, s12
	v_mad_u64_u32 v[1:2], null, s14, s39, v[0:1]
	s_mul_i32 s0, s13, s28
	s_add_i32 s1, s1, s29
	v_mov_b32_e32 v2, 0
	s_lshl_b64 s[0:1], s[0:1], 2
	s_mul_hi_u32 s44, s16, s13
	s_add_u32 s28, s6, s0
	s_mul_i32 s17, s17, s13
	s_addc_u32 s29, s7, s1
	s_add_i32 s1, s44, s45
	s_mul_i32 s12, s16, s13
	s_add_i32 s13, s1, s17
	v_lshlrev_b64 v[3:4], 2, v[1:2]
	s_lshl_b64 s[6:7], s[12:13], 2
	v_lshlrev_b64 v[5:6], 1, v[1:2]
	s_add_u32 s1, s8, s6
	s_addc_u32 s6, s9, s7
	v_cmp_gt_i64_e64 s0, s[10:11], v[1:2]
	v_add_co_u32 v0, vcc_lo, s1, v3
	v_add_co_ci_u32_e32 v9, vcc_lo, s6, v4, vcc_lo
	v_add_co_u32 v10, vcc_lo, s4, v5
	v_add_co_ci_u32_e32 v11, vcc_lo, s5, v6, vcc_lo
	s_lshl_b64 s[4:5], s[18:19], 2
	s_lshl_b64 s[6:7], s[20:21], 2
	s_mov_b64 s[8:9], s[2:3]
	s_branch .LBB10_3
.LBB10_2:                               ;   in Loop: Header=BB10_3 Depth=1
	s_set_inst_prefetch_distance 0x2
	s_or_b32 exec_lo, exec_lo, s18
	s_add_u32 s8, s8, s38
	s_addc_u32 s9, s9, 0
	s_delay_alu instid0(SALU_CYCLE_1) | instskip(NEXT) | instid1(VALU_DEP_1)
	v_cmp_lt_i64_e64 s1, s[8:9], s[36:37]
	s_and_b32 vcc_lo, exec_lo, s1
	s_cbranch_vccz .LBB10_6
.LBB10_3:                               ; =>This Loop Header: Depth=1
                                        ;     Child Loop BB10_5 Depth 2
	s_and_saveexec_b32 s18, s0
	s_cbranch_execz .LBB10_2
; %bb.4:                                ;   in Loop: Header=BB10_3 Depth=1
	s_mul_hi_u32 s1, s8, s33
	v_dual_mov_b32 v8, v2 :: v_dual_mov_b32 v7, v1
	s_add_i32 s1, s1, s8
	s_delay_alu instid0(SALU_CYCLE_1) | instskip(NEXT) | instid1(SALU_CYCLE_1)
	s_lshr_b32 s1, s1, s34
	s_mul_i32 s2, s1, s35
	s_mul_i32 s12, s1, s31
	s_mul_hi_u32 s13, s1, s30
	s_ashr_i32 s16, s1, 31
	s_add_i32 s12, s13, s12
	s_mul_i32 s13, s16, s30
	s_sub_i32 s17, s8, s2
	s_add_i32 s13, s12, s13
	s_mul_i32 s2, s17, s41
	s_mul_hi_u32 s12, s17, s40
	s_ashr_i32 s19, s17, 31
	s_add_i32 s2, s12, s2
	s_mul_i32 s12, s1, s30
	s_mul_i32 s14, s19, s40
	s_lshl_b64 s[12:13], s[12:13], 2
	s_add_i32 s15, s2, s14
	s_load_b32 s2, s[42:43], 0x4
	s_mul_i32 s14, s17, s40
	s_add_u32 s20, s28, s12
	s_addc_u32 s21, s29, s13
	s_lshl_b64 s[12:13], s[14:15], 2
	s_mul_i32 s14, s1, s25
	s_mul_hi_u32 s15, s1, s24
	s_add_u32 s12, s20, s12
	s_addc_u32 s13, s21, s13
	s_add_i32 s14, s15, s14
	s_mul_i32 s15, s16, s24
	s_mul_hi_u32 s21, s6, s17
	s_add_i32 s20, s14, s15
	s_mul_i32 s14, s4, s16
	s_mul_hi_u32 s15, s4, s1
	s_mul_i32 s16, s1, s24
	s_add_i32 s14, s15, s14
	s_mul_i32 s15, s5, s1
	s_mul_i32 s1, s4, s1
	s_add_i32 s14, s14, s15
	s_mul_i32 s15, s6, s19
	;; [unrolled: 3-line block ×3, first 2 shown]
	s_waitcnt lgkmcnt(0)
	s_mul_i32 s2, s2, s39
	s_add_i32 s15, s15, s21
	s_add_u32 s1, s1, s44
	s_addc_u32 s14, s14, s15
	v_add_co_u32 v3, vcc_lo, v0, s1
	s_mul_i32 s1, s26, s19
	s_mul_hi_u32 s19, s26, s17
	v_add_co_ci_u32_e32 v4, vcc_lo, s14, v9, vcc_lo
	s_add_i32 s1, s19, s1
	s_mul_i32 s19, s27, s17
	s_mul_i32 s17, s26, s17
	s_lshl_b64 s[14:15], s[2:3], 2
	s_add_i32 s1, s1, s19
	s_add_u32 s16, s16, s17
	s_addc_u32 s1, s20, s1
	v_add_co_u32 v5, vcc_lo, v10, s16
	v_add_co_ci_u32_e32 v6, vcc_lo, s1, v11, vcc_lo
	s_lshl_b64 s[16:17], s[2:3], 1
	s_mov_b32 s19, 0
	s_set_inst_prefetch_distance 0x1
	.p2align	6
.LBB10_5:                               ;   Parent Loop BB10_3 Depth=1
                                        ; =>  This Inner Loop Header: Depth=2
	global_load_b32 v14, v2, s[12:13]
	v_add_co_u32 v7, vcc_lo, v7, s2
	v_add_co_ci_u32_e32 v8, vcc_lo, 0, v8, vcc_lo
	s_delay_alu instid0(VALU_DEP_1)
	v_cmp_le_i64_e32 vcc_lo, s[10:11], v[7:8]
	s_or_b32 s19, vcc_lo, s19
	s_waitcnt vmcnt(0)
	v_ashrrev_i32_e32 v15, 31, v14
	v_mul_lo_u32 v16, v14, s23
	v_mad_u64_u32 v[12:13], null, v14, s22, v[5:6]
	v_add_co_u32 v5, s1, v5, s16
	s_delay_alu instid0(VALU_DEP_4) | instskip(SKIP_1) | instid1(VALU_DEP_2)
	v_mul_lo_u32 v14, v15, s22
	v_add_co_ci_u32_e64 v6, s1, s17, v6, s1
	v_add3_u32 v13, v16, v14, v13
	global_load_u16 v12, v[12:13], off
	s_waitcnt vmcnt(0)
	v_cvt_f32_f16_e32 v12, v12
	s_delay_alu instid0(VALU_DEP_1) | instskip(SKIP_2) | instid1(VALU_DEP_1)
	v_cvt_i32_f32_e32 v12, v12
	global_store_b32 v[3:4], v12, off
	v_add_co_u32 v3, s1, v3, s14
	v_add_co_ci_u32_e64 v4, s1, s15, v4, s1
	s_and_not1_b32 exec_lo, exec_lo, s19
	s_cbranch_execnz .LBB10_5
	s_branch .LBB10_2
.LBB10_6:
	s_nop 0
	s_sendmsg sendmsg(MSG_DEALLOC_VGPRS)
	s_endpgm
	.section	.rodata,"a",@progbits
	.p2align	6, 0x0
	.amdhsa_kernel _ZL16k_get_rows_floatI6__halfiEvPKT_PKiPT0_ll15HIP_vector_typeIjLj3EEmmmmmmmmm
		.amdhsa_group_segment_fixed_size 0
		.amdhsa_private_segment_fixed_size 0
		.amdhsa_kernarg_size 384
		.amdhsa_user_sgpr_count 13
		.amdhsa_user_sgpr_dispatch_ptr 0
		.amdhsa_user_sgpr_queue_ptr 0
		.amdhsa_user_sgpr_kernarg_segment_ptr 1
		.amdhsa_user_sgpr_dispatch_id 0
		.amdhsa_user_sgpr_private_segment_size 0
		.amdhsa_wavefront_size32 1
		.amdhsa_uses_dynamic_stack 0
		.amdhsa_enable_private_segment 0
		.amdhsa_system_sgpr_workgroup_id_x 1
		.amdhsa_system_sgpr_workgroup_id_y 1
		.amdhsa_system_sgpr_workgroup_id_z 1
		.amdhsa_system_sgpr_workgroup_info 0
		.amdhsa_system_vgpr_workitem_id 0
		.amdhsa_next_free_vgpr 17
		.amdhsa_next_free_sgpr 46
		.amdhsa_reserve_vcc 1
		.amdhsa_float_round_mode_32 0
		.amdhsa_float_round_mode_16_64 0
		.amdhsa_float_denorm_mode_32 3
		.amdhsa_float_denorm_mode_16_64 3
		.amdhsa_dx10_clamp 1
		.amdhsa_ieee_mode 1
		.amdhsa_fp16_overflow 0
		.amdhsa_workgroup_processor_mode 1
		.amdhsa_memory_ordered 1
		.amdhsa_forward_progress 0
		.amdhsa_shared_vgpr_count 0
		.amdhsa_exception_fp_ieee_invalid_op 0
		.amdhsa_exception_fp_denorm_src 0
		.amdhsa_exception_fp_ieee_div_zero 0
		.amdhsa_exception_fp_ieee_overflow 0
		.amdhsa_exception_fp_ieee_underflow 0
		.amdhsa_exception_fp_ieee_inexact 0
		.amdhsa_exception_int_div_zero 0
	.end_amdhsa_kernel
	.section	.text._ZL16k_get_rows_floatI6__halfiEvPKT_PKiPT0_ll15HIP_vector_typeIjLj3EEmmmmmmmmm,"axG",@progbits,_ZL16k_get_rows_floatI6__halfiEvPKT_PKiPT0_ll15HIP_vector_typeIjLj3EEmmmmmmmmm,comdat
.Lfunc_end10:
	.size	_ZL16k_get_rows_floatI6__halfiEvPKT_PKiPT0_ll15HIP_vector_typeIjLj3EEmmmmmmmmm, .Lfunc_end10-_ZL16k_get_rows_floatI6__halfiEvPKT_PKiPT0_ll15HIP_vector_typeIjLj3EEmmmmmmmmm
                                        ; -- End function
	.section	.AMDGPU.csdata,"",@progbits
; Kernel info:
; codeLenInByte = 776
; NumSgprs: 48
; NumVgprs: 17
; ScratchSize: 0
; MemoryBound: 0
; FloatMode: 240
; IeeeMode: 1
; LDSByteSize: 0 bytes/workgroup (compile time only)
; SGPRBlocks: 5
; VGPRBlocks: 2
; NumSGPRsForWavesPerEU: 48
; NumVGPRsForWavesPerEU: 17
; Occupancy: 16
; WaveLimiterHint : 1
; COMPUTE_PGM_RSRC2:SCRATCH_EN: 0
; COMPUTE_PGM_RSRC2:USER_SGPR: 13
; COMPUTE_PGM_RSRC2:TRAP_HANDLER: 0
; COMPUTE_PGM_RSRC2:TGID_X_EN: 1
; COMPUTE_PGM_RSRC2:TGID_Y_EN: 1
; COMPUTE_PGM_RSRC2:TGID_Z_EN: 1
; COMPUTE_PGM_RSRC2:TIDIG_COMP_CNT: 0
	.section	.text._ZL16k_get_rows_floatIfiEvPKT_PKiPT0_ll15HIP_vector_typeIjLj3EEmmmmmmmmm,"axG",@progbits,_ZL16k_get_rows_floatIfiEvPKT_PKiPT0_ll15HIP_vector_typeIjLj3EEmmmmmmmmm,comdat
	.globl	_ZL16k_get_rows_floatIfiEvPKT_PKiPT0_ll15HIP_vector_typeIjLj3EEmmmmmmmmm ; -- Begin function _ZL16k_get_rows_floatIfiEvPKT_PKiPT0_ll15HIP_vector_typeIjLj3EEmmmmmmmmm
	.p2align	8
	.type	_ZL16k_get_rows_floatIfiEvPKT_PKiPT0_ll15HIP_vector_typeIjLj3EEmmmmmmmmm,@function
_ZL16k_get_rows_floatIfiEvPKT_PKiPT0_ll15HIP_vector_typeIjLj3EEmmmmmmmmm: ; @_ZL16k_get_rows_floatIfiEvPKT_PKiPT0_ll15HIP_vector_typeIjLj3EEmmmmmmmmm
; %bb.0:
	s_clause 0x1
	s_load_b64 s[4:5], s[0:1], 0x20
	s_load_b64 s[34:35], s[0:1], 0x2c
	s_mov_b32 s2, s15
	s_mov_b32 s3, 0
	s_waitcnt lgkmcnt(0)
	s_mul_i32 s5, s35, s5
	s_mul_hi_u32 s6, s35, s4
	s_mul_i32 s36, s35, s4
	s_add_i32 s37, s6, s5
	s_delay_alu instid0(SALU_CYCLE_1) | instskip(NEXT) | instid1(VALU_DEP_1)
	v_cmp_le_i64_e64 s4, s[36:37], s[2:3]
	s_and_b32 vcc_lo, exec_lo, s4
	s_cbranch_vccnz .LBB11_6
; %bb.1:
	s_clause 0x4
	s_load_b64 s[38:39], s[0:1], 0x88
	s_load_b512 s[16:31], s[0:1], 0x38
	s_load_b256 s[4:11], s[0:1], 0x0
	s_load_b64 s[40:41], s[0:1], 0x78
	s_load_b32 s33, s[0:1], 0x28
	s_add_u32 s42, s0, 0x80
	s_addc_u32 s43, s1, 0
	s_ashr_i32 s1, s13, 31
	s_waitcnt lgkmcnt(0)
	s_and_b32 s39, s39, 0xffff
	s_mul_i32 s12, s13, s29
	s_mul_hi_u32 s15, s13, s28
	s_mul_i32 s29, s1, s28
	s_mul_i32 s45, s16, s1
	s_add_i32 s1, s15, s12
	v_mad_u64_u32 v[1:2], null, s14, s39, v[0:1]
	s_mul_i32 s0, s13, s28
	s_add_i32 s1, s1, s29
	v_mov_b32_e32 v2, 0
	s_lshl_b64 s[0:1], s[0:1], 2
	s_mul_hi_u32 s44, s16, s13
	s_add_u32 s28, s6, s0
	s_mul_i32 s12, s17, s13
	s_addc_u32 s29, s7, s1
	s_add_i32 s1, s44, s45
	s_mul_i32 s0, s16, s13
	s_add_i32 s1, s1, s12
	v_lshlrev_b64 v[3:4], 2, v[1:2]
	s_lshl_b64 s[6:7], s[0:1], 2
	v_cmp_gt_i64_e64 s0, s[10:11], v[1:2]
	s_add_u32 s1, s8, s6
	s_addc_u32 s6, s9, s7
	s_mov_b64 s[8:9], s[2:3]
	v_add_co_u32 v0, vcc_lo, s1, v3
	v_add_co_ci_u32_e32 v5, vcc_lo, s6, v4, vcc_lo
	v_add_co_u32 v6, vcc_lo, s4, v3
	v_add_co_ci_u32_e32 v7, vcc_lo, s5, v4, vcc_lo
	s_lshl_b64 s[4:5], s[18:19], 2
	s_lshl_b64 s[6:7], s[20:21], 2
	s_branch .LBB11_3
.LBB11_2:                               ;   in Loop: Header=BB11_3 Depth=1
	s_set_inst_prefetch_distance 0x2
	s_or_b32 exec_lo, exec_lo, s18
	s_add_u32 s8, s8, s38
	s_addc_u32 s9, s9, 0
	s_delay_alu instid0(SALU_CYCLE_1) | instskip(NEXT) | instid1(VALU_DEP_1)
	v_cmp_lt_i64_e64 s1, s[8:9], s[36:37]
	s_and_b32 vcc_lo, exec_lo, s1
	s_cbranch_vccz .LBB11_6
.LBB11_3:                               ; =>This Loop Header: Depth=1
                                        ;     Child Loop BB11_5 Depth 2
	s_and_saveexec_b32 s18, s0
	s_cbranch_execz .LBB11_2
; %bb.4:                                ;   in Loop: Header=BB11_3 Depth=1
	s_mul_hi_u32 s1, s8, s33
	v_dual_mov_b32 v4, v2 :: v_dual_mov_b32 v3, v1
	s_add_i32 s1, s1, s8
	s_delay_alu instid0(SALU_CYCLE_1) | instskip(NEXT) | instid1(SALU_CYCLE_1)
	s_lshr_b32 s1, s1, s34
	s_mul_i32 s2, s1, s35
	s_mul_i32 s12, s1, s31
	s_mul_hi_u32 s13, s1, s30
	s_ashr_i32 s16, s1, 31
	s_add_i32 s12, s13, s12
	s_mul_i32 s13, s16, s30
	s_sub_i32 s17, s8, s2
	s_add_i32 s13, s12, s13
	s_mul_i32 s2, s17, s41
	s_mul_hi_u32 s12, s17, s40
	s_ashr_i32 s19, s17, 31
	s_add_i32 s2, s12, s2
	s_mul_i32 s12, s1, s30
	s_mul_i32 s14, s19, s40
	s_lshl_b64 s[12:13], s[12:13], 2
	s_add_i32 s15, s2, s14
	s_load_b32 s2, s[42:43], 0x4
	s_mul_i32 s14, s17, s40
	s_add_u32 s20, s28, s12
	s_addc_u32 s21, s29, s13
	s_lshl_b64 s[12:13], s[14:15], 2
	s_mul_i32 s14, s1, s25
	s_mul_hi_u32 s15, s1, s24
	s_add_u32 s12, s20, s12
	s_addc_u32 s13, s21, s13
	s_add_i32 s14, s15, s14
	s_mul_i32 s15, s16, s24
	s_mul_hi_u32 s21, s6, s17
	s_add_i32 s20, s14, s15
	s_mul_i32 s14, s4, s16
	s_mul_hi_u32 s15, s4, s1
	s_mul_i32 s16, s1, s24
	s_add_i32 s14, s15, s14
	s_mul_i32 s15, s5, s1
	s_mul_i32 s1, s4, s1
	s_add_i32 s14, s14, s15
	s_mul_i32 s15, s6, s19
	;; [unrolled: 3-line block ×3, first 2 shown]
	s_waitcnt lgkmcnt(0)
	s_mul_i32 s2, s2, s39
	s_add_i32 s15, s15, s21
	s_add_u32 s1, s1, s44
	s_addc_u32 s14, s14, s15
	v_add_co_u32 v8, vcc_lo, v0, s1
	s_mul_i32 s1, s26, s19
	s_mul_hi_u32 s19, s26, s17
	v_add_co_ci_u32_e32 v9, vcc_lo, s14, v5, vcc_lo
	s_add_i32 s1, s19, s1
	s_mul_i32 s19, s27, s17
	s_mul_i32 s17, s26, s17
	s_lshl_b64 s[14:15], s[2:3], 2
	s_add_i32 s1, s1, s19
	s_add_u32 s16, s16, s17
	s_addc_u32 s1, s20, s1
	v_add_co_u32 v10, vcc_lo, v6, s16
	v_add_co_ci_u32_e32 v11, vcc_lo, s1, v7, vcc_lo
	s_mov_b64 s[16:17], 0
	s_mov_b32 s19, 0
	s_set_inst_prefetch_distance 0x1
	.p2align	6
.LBB11_5:                               ;   Parent Loop BB11_3 Depth=1
                                        ; =>  This Inner Loop Header: Depth=2
	global_load_b32 v12, v2, s[12:13]
	s_waitcnt vmcnt(0)
	v_mul_lo_u32 v13, v12, s23
	v_mul_hi_u32 v14, v12, s22
	v_ashrrev_i32_e32 v15, 31, v12
	v_mul_lo_u32 v12, v12, s22
	s_delay_alu instid0(VALU_DEP_2) | instskip(NEXT) | instid1(VALU_DEP_4)
	v_mul_lo_u32 v15, v15, s22
	v_add_nc_u32_e32 v13, v14, v13
	s_delay_alu instid0(VALU_DEP_3) | instskip(NEXT) | instid1(VALU_DEP_2)
	v_add_co_u32 v12, vcc_lo, s16, v12
	v_add_nc_u32_e32 v13, v13, v15
	s_delay_alu instid0(VALU_DEP_1) | instskip(NEXT) | instid1(VALU_DEP_3)
	v_add_co_ci_u32_e32 v13, vcc_lo, s17, v13, vcc_lo
	v_add_co_u32 v12, vcc_lo, v10, v12
	s_delay_alu instid0(VALU_DEP_2)
	v_add_co_ci_u32_e32 v13, vcc_lo, v11, v13, vcc_lo
	v_add_co_u32 v3, vcc_lo, v3, s2
	v_add_co_ci_u32_e32 v4, vcc_lo, 0, v4, vcc_lo
	global_load_b32 v14, v[12:13], off
	v_add_co_u32 v12, vcc_lo, v8, s16
	v_cmp_le_i64_e64 s1, s[10:11], v[3:4]
	v_add_co_ci_u32_e32 v13, vcc_lo, s17, v9, vcc_lo
	s_add_u32 s16, s16, s14
	s_addc_u32 s17, s17, s15
	s_delay_alu instid0(VALU_DEP_2)
	s_or_b32 s19, s1, s19
	s_waitcnt vmcnt(0)
	v_cvt_i32_f32_e32 v14, v14
	global_store_b32 v[12:13], v14, off
	s_and_not1_b32 exec_lo, exec_lo, s19
	s_cbranch_execnz .LBB11_5
	s_branch .LBB11_2
.LBB11_6:
	s_nop 0
	s_sendmsg sendmsg(MSG_DEALLOC_VGPRS)
	s_endpgm
	.section	.rodata,"a",@progbits
	.p2align	6, 0x0
	.amdhsa_kernel _ZL16k_get_rows_floatIfiEvPKT_PKiPT0_ll15HIP_vector_typeIjLj3EEmmmmmmmmm
		.amdhsa_group_segment_fixed_size 0
		.amdhsa_private_segment_fixed_size 0
		.amdhsa_kernarg_size 384
		.amdhsa_user_sgpr_count 13
		.amdhsa_user_sgpr_dispatch_ptr 0
		.amdhsa_user_sgpr_queue_ptr 0
		.amdhsa_user_sgpr_kernarg_segment_ptr 1
		.amdhsa_user_sgpr_dispatch_id 0
		.amdhsa_user_sgpr_private_segment_size 0
		.amdhsa_wavefront_size32 1
		.amdhsa_uses_dynamic_stack 0
		.amdhsa_enable_private_segment 0
		.amdhsa_system_sgpr_workgroup_id_x 1
		.amdhsa_system_sgpr_workgroup_id_y 1
		.amdhsa_system_sgpr_workgroup_id_z 1
		.amdhsa_system_sgpr_workgroup_info 0
		.amdhsa_system_vgpr_workitem_id 0
		.amdhsa_next_free_vgpr 16
		.amdhsa_next_free_sgpr 46
		.amdhsa_reserve_vcc 1
		.amdhsa_float_round_mode_32 0
		.amdhsa_float_round_mode_16_64 0
		.amdhsa_float_denorm_mode_32 3
		.amdhsa_float_denorm_mode_16_64 3
		.amdhsa_dx10_clamp 1
		.amdhsa_ieee_mode 1
		.amdhsa_fp16_overflow 0
		.amdhsa_workgroup_processor_mode 1
		.amdhsa_memory_ordered 1
		.amdhsa_forward_progress 0
		.amdhsa_shared_vgpr_count 0
		.amdhsa_exception_fp_ieee_invalid_op 0
		.amdhsa_exception_fp_denorm_src 0
		.amdhsa_exception_fp_ieee_div_zero 0
		.amdhsa_exception_fp_ieee_overflow 0
		.amdhsa_exception_fp_ieee_underflow 0
		.amdhsa_exception_fp_ieee_inexact 0
		.amdhsa_exception_int_div_zero 0
	.end_amdhsa_kernel
	.section	.text._ZL16k_get_rows_floatIfiEvPKT_PKiPT0_ll15HIP_vector_typeIjLj3EEmmmmmmmmm,"axG",@progbits,_ZL16k_get_rows_floatIfiEvPKT_PKiPT0_ll15HIP_vector_typeIjLj3EEmmmmmmmmm,comdat
.Lfunc_end11:
	.size	_ZL16k_get_rows_floatIfiEvPKT_PKiPT0_ll15HIP_vector_typeIjLj3EEmmmmmmmmm, .Lfunc_end11-_ZL16k_get_rows_floatIfiEvPKT_PKiPT0_ll15HIP_vector_typeIjLj3EEmmmmmmmmm
                                        ; -- End function
	.section	.AMDGPU.csdata,"",@progbits
; Kernel info:
; codeLenInByte = 796
; NumSgprs: 48
; NumVgprs: 16
; ScratchSize: 0
; MemoryBound: 0
; FloatMode: 240
; IeeeMode: 1
; LDSByteSize: 0 bytes/workgroup (compile time only)
; SGPRBlocks: 5
; VGPRBlocks: 1
; NumSGPRsForWavesPerEU: 48
; NumVGPRsForWavesPerEU: 16
; Occupancy: 16
; WaveLimiterHint : 1
; COMPUTE_PGM_RSRC2:SCRATCH_EN: 0
; COMPUTE_PGM_RSRC2:USER_SGPR: 13
; COMPUTE_PGM_RSRC2:TRAP_HANDLER: 0
; COMPUTE_PGM_RSRC2:TGID_X_EN: 1
; COMPUTE_PGM_RSRC2:TGID_Y_EN: 1
; COMPUTE_PGM_RSRC2:TGID_Z_EN: 1
; COMPUTE_PGM_RSRC2:TIDIG_COMP_CNT: 0
	.section	.text._ZL16k_get_rows_floatIiiEvPKT_PKiPT0_ll15HIP_vector_typeIjLj3EEmmmmmmmmm,"axG",@progbits,_ZL16k_get_rows_floatIiiEvPKT_PKiPT0_ll15HIP_vector_typeIjLj3EEmmmmmmmmm,comdat
	.globl	_ZL16k_get_rows_floatIiiEvPKT_PKiPT0_ll15HIP_vector_typeIjLj3EEmmmmmmmmm ; -- Begin function _ZL16k_get_rows_floatIiiEvPKT_PKiPT0_ll15HIP_vector_typeIjLj3EEmmmmmmmmm
	.p2align	8
	.type	_ZL16k_get_rows_floatIiiEvPKT_PKiPT0_ll15HIP_vector_typeIjLj3EEmmmmmmmmm,@function
_ZL16k_get_rows_floatIiiEvPKT_PKiPT0_ll15HIP_vector_typeIjLj3EEmmmmmmmmm: ; @_ZL16k_get_rows_floatIiiEvPKT_PKiPT0_ll15HIP_vector_typeIjLj3EEmmmmmmmmm
; %bb.0:
	s_clause 0x1
	s_load_b64 s[4:5], s[0:1], 0x20
	s_load_b64 s[34:35], s[0:1], 0x2c
	s_mov_b32 s2, s15
	s_mov_b32 s3, 0
	s_waitcnt lgkmcnt(0)
	s_mul_i32 s5, s35, s5
	s_mul_hi_u32 s6, s35, s4
	s_mul_i32 s36, s35, s4
	s_add_i32 s37, s6, s5
	s_delay_alu instid0(SALU_CYCLE_1) | instskip(NEXT) | instid1(VALU_DEP_1)
	v_cmp_le_i64_e64 s4, s[36:37], s[2:3]
	s_and_b32 vcc_lo, exec_lo, s4
	s_cbranch_vccnz .LBB12_6
; %bb.1:
	s_clause 0x4
	s_load_b64 s[38:39], s[0:1], 0x88
	s_load_b512 s[16:31], s[0:1], 0x38
	s_load_b256 s[4:11], s[0:1], 0x0
	s_load_b64 s[40:41], s[0:1], 0x78
	s_load_b32 s33, s[0:1], 0x28
	s_add_u32 s42, s0, 0x80
	s_addc_u32 s43, s1, 0
	s_ashr_i32 s1, s13, 31
	s_waitcnt lgkmcnt(0)
	s_and_b32 s39, s39, 0xffff
	s_mul_i32 s12, s13, s29
	s_mul_hi_u32 s15, s13, s28
	s_mul_i32 s29, s1, s28
	s_mul_i32 s45, s16, s1
	s_add_i32 s1, s15, s12
	v_mad_u64_u32 v[1:2], null, s14, s39, v[0:1]
	s_mul_i32 s0, s13, s28
	s_add_i32 s1, s1, s29
	v_mov_b32_e32 v2, 0
	s_lshl_b64 s[0:1], s[0:1], 2
	s_mul_hi_u32 s44, s16, s13
	s_add_u32 s28, s6, s0
	s_mul_i32 s12, s17, s13
	s_addc_u32 s29, s7, s1
	s_add_i32 s1, s44, s45
	s_mul_i32 s0, s16, s13
	s_add_i32 s1, s1, s12
	v_lshlrev_b64 v[3:4], 2, v[1:2]
	s_lshl_b64 s[6:7], s[0:1], 2
	v_cmp_gt_i64_e64 s0, s[10:11], v[1:2]
	s_add_u32 s1, s8, s6
	s_addc_u32 s6, s9, s7
	s_mov_b64 s[8:9], s[2:3]
	v_add_co_u32 v0, vcc_lo, s1, v3
	v_add_co_ci_u32_e32 v5, vcc_lo, s6, v4, vcc_lo
	v_add_co_u32 v6, vcc_lo, s4, v3
	v_add_co_ci_u32_e32 v7, vcc_lo, s5, v4, vcc_lo
	s_lshl_b64 s[4:5], s[18:19], 2
	s_lshl_b64 s[6:7], s[20:21], 2
	s_branch .LBB12_3
.LBB12_2:                               ;   in Loop: Header=BB12_3 Depth=1
	s_set_inst_prefetch_distance 0x2
	s_or_b32 exec_lo, exec_lo, s18
	s_add_u32 s8, s8, s38
	s_addc_u32 s9, s9, 0
	s_delay_alu instid0(SALU_CYCLE_1) | instskip(NEXT) | instid1(VALU_DEP_1)
	v_cmp_lt_i64_e64 s1, s[8:9], s[36:37]
	s_and_b32 vcc_lo, exec_lo, s1
	s_cbranch_vccz .LBB12_6
.LBB12_3:                               ; =>This Loop Header: Depth=1
                                        ;     Child Loop BB12_5 Depth 2
	s_and_saveexec_b32 s18, s0
	s_cbranch_execz .LBB12_2
; %bb.4:                                ;   in Loop: Header=BB12_3 Depth=1
	s_mul_hi_u32 s1, s8, s33
	v_dual_mov_b32 v4, v2 :: v_dual_mov_b32 v3, v1
	s_add_i32 s1, s1, s8
	s_delay_alu instid0(SALU_CYCLE_1) | instskip(NEXT) | instid1(SALU_CYCLE_1)
	s_lshr_b32 s1, s1, s34
	s_mul_i32 s2, s1, s35
	s_mul_i32 s12, s1, s31
	s_mul_hi_u32 s13, s1, s30
	s_ashr_i32 s16, s1, 31
	s_add_i32 s12, s13, s12
	s_mul_i32 s13, s16, s30
	s_sub_i32 s17, s8, s2
	s_add_i32 s13, s12, s13
	s_mul_i32 s2, s17, s41
	s_mul_hi_u32 s12, s17, s40
	s_ashr_i32 s19, s17, 31
	s_add_i32 s2, s12, s2
	s_mul_i32 s12, s1, s30
	s_mul_i32 s14, s19, s40
	s_lshl_b64 s[12:13], s[12:13], 2
	s_add_i32 s15, s2, s14
	s_load_b32 s2, s[42:43], 0x4
	s_mul_i32 s14, s17, s40
	s_add_u32 s20, s28, s12
	s_addc_u32 s21, s29, s13
	s_lshl_b64 s[12:13], s[14:15], 2
	s_mul_i32 s14, s1, s25
	s_mul_hi_u32 s15, s1, s24
	s_add_u32 s12, s20, s12
	s_addc_u32 s13, s21, s13
	s_add_i32 s14, s15, s14
	s_mul_i32 s15, s16, s24
	s_mul_hi_u32 s21, s6, s17
	s_add_i32 s20, s14, s15
	s_mul_i32 s14, s4, s16
	s_mul_hi_u32 s15, s4, s1
	s_mul_i32 s16, s1, s24
	s_add_i32 s14, s15, s14
	s_mul_i32 s15, s5, s1
	s_mul_i32 s1, s4, s1
	s_add_i32 s14, s14, s15
	s_mul_i32 s15, s6, s19
	;; [unrolled: 3-line block ×3, first 2 shown]
	s_waitcnt lgkmcnt(0)
	s_mul_i32 s2, s2, s39
	s_add_i32 s15, s15, s21
	s_add_u32 s1, s1, s44
	s_addc_u32 s14, s14, s15
	v_add_co_u32 v8, vcc_lo, v0, s1
	s_mul_i32 s1, s26, s19
	s_mul_hi_u32 s19, s26, s17
	v_add_co_ci_u32_e32 v9, vcc_lo, s14, v5, vcc_lo
	s_add_i32 s1, s19, s1
	s_mul_i32 s19, s27, s17
	s_mul_i32 s17, s26, s17
	s_lshl_b64 s[14:15], s[2:3], 2
	s_add_i32 s1, s1, s19
	s_add_u32 s16, s16, s17
	s_addc_u32 s1, s20, s1
	v_add_co_u32 v10, vcc_lo, v6, s16
	v_add_co_ci_u32_e32 v11, vcc_lo, s1, v7, vcc_lo
	s_mov_b64 s[16:17], 0
	s_mov_b32 s19, 0
	s_set_inst_prefetch_distance 0x1
	.p2align	6
.LBB12_5:                               ;   Parent Loop BB12_3 Depth=1
                                        ; =>  This Inner Loop Header: Depth=2
	global_load_b32 v12, v2, s[12:13]
	s_waitcnt vmcnt(0)
	v_mul_lo_u32 v13, v12, s23
	v_mul_hi_u32 v14, v12, s22
	v_ashrrev_i32_e32 v15, 31, v12
	v_mul_lo_u32 v12, v12, s22
	s_delay_alu instid0(VALU_DEP_2) | instskip(NEXT) | instid1(VALU_DEP_4)
	v_mul_lo_u32 v15, v15, s22
	v_add_nc_u32_e32 v13, v14, v13
	s_delay_alu instid0(VALU_DEP_3) | instskip(NEXT) | instid1(VALU_DEP_2)
	v_add_co_u32 v12, vcc_lo, s16, v12
	v_add_nc_u32_e32 v13, v13, v15
	s_delay_alu instid0(VALU_DEP_1) | instskip(NEXT) | instid1(VALU_DEP_3)
	v_add_co_ci_u32_e32 v13, vcc_lo, s17, v13, vcc_lo
	v_add_co_u32 v12, vcc_lo, v10, v12
	s_delay_alu instid0(VALU_DEP_2)
	v_add_co_ci_u32_e32 v13, vcc_lo, v11, v13, vcc_lo
	v_add_co_u32 v3, vcc_lo, v3, s2
	v_add_co_ci_u32_e32 v4, vcc_lo, 0, v4, vcc_lo
	global_load_b32 v14, v[12:13], off
	v_add_co_u32 v12, s1, v8, s16
	v_cmp_le_i64_e32 vcc_lo, s[10:11], v[3:4]
	v_add_co_ci_u32_e64 v13, s1, s17, v9, s1
	s_add_u32 s16, s16, s14
	s_addc_u32 s17, s17, s15
	s_or_b32 s19, vcc_lo, s19
	s_waitcnt vmcnt(0)
	global_store_b32 v[12:13], v14, off
	s_and_not1_b32 exec_lo, exec_lo, s19
	s_cbranch_execnz .LBB12_5
	s_branch .LBB12_2
.LBB12_6:
	s_nop 0
	s_sendmsg sendmsg(MSG_DEALLOC_VGPRS)
	s_endpgm
	.section	.rodata,"a",@progbits
	.p2align	6, 0x0
	.amdhsa_kernel _ZL16k_get_rows_floatIiiEvPKT_PKiPT0_ll15HIP_vector_typeIjLj3EEmmmmmmmmm
		.amdhsa_group_segment_fixed_size 0
		.amdhsa_private_segment_fixed_size 0
		.amdhsa_kernarg_size 384
		.amdhsa_user_sgpr_count 13
		.amdhsa_user_sgpr_dispatch_ptr 0
		.amdhsa_user_sgpr_queue_ptr 0
		.amdhsa_user_sgpr_kernarg_segment_ptr 1
		.amdhsa_user_sgpr_dispatch_id 0
		.amdhsa_user_sgpr_private_segment_size 0
		.amdhsa_wavefront_size32 1
		.amdhsa_uses_dynamic_stack 0
		.amdhsa_enable_private_segment 0
		.amdhsa_system_sgpr_workgroup_id_x 1
		.amdhsa_system_sgpr_workgroup_id_y 1
		.amdhsa_system_sgpr_workgroup_id_z 1
		.amdhsa_system_sgpr_workgroup_info 0
		.amdhsa_system_vgpr_workitem_id 0
		.amdhsa_next_free_vgpr 16
		.amdhsa_next_free_sgpr 46
		.amdhsa_reserve_vcc 1
		.amdhsa_float_round_mode_32 0
		.amdhsa_float_round_mode_16_64 0
		.amdhsa_float_denorm_mode_32 3
		.amdhsa_float_denorm_mode_16_64 3
		.amdhsa_dx10_clamp 1
		.amdhsa_ieee_mode 1
		.amdhsa_fp16_overflow 0
		.amdhsa_workgroup_processor_mode 1
		.amdhsa_memory_ordered 1
		.amdhsa_forward_progress 0
		.amdhsa_shared_vgpr_count 0
		.amdhsa_exception_fp_ieee_invalid_op 0
		.amdhsa_exception_fp_denorm_src 0
		.amdhsa_exception_fp_ieee_div_zero 0
		.amdhsa_exception_fp_ieee_overflow 0
		.amdhsa_exception_fp_ieee_underflow 0
		.amdhsa_exception_fp_ieee_inexact 0
		.amdhsa_exception_int_div_zero 0
	.end_amdhsa_kernel
	.section	.text._ZL16k_get_rows_floatIiiEvPKT_PKiPT0_ll15HIP_vector_typeIjLj3EEmmmmmmmmm,"axG",@progbits,_ZL16k_get_rows_floatIiiEvPKT_PKiPT0_ll15HIP_vector_typeIjLj3EEmmmmmmmmm,comdat
.Lfunc_end12:
	.size	_ZL16k_get_rows_floatIiiEvPKT_PKiPT0_ll15HIP_vector_typeIjLj3EEmmmmmmmmm, .Lfunc_end12-_ZL16k_get_rows_floatIiiEvPKT_PKiPT0_ll15HIP_vector_typeIjLj3EEmmmmmmmmm
                                        ; -- End function
	.section	.AMDGPU.csdata,"",@progbits
; Kernel info:
; codeLenInByte = 788
; NumSgprs: 48
; NumVgprs: 16
; ScratchSize: 0
; MemoryBound: 0
; FloatMode: 240
; IeeeMode: 1
; LDSByteSize: 0 bytes/workgroup (compile time only)
; SGPRBlocks: 5
; VGPRBlocks: 1
; NumSGPRsForWavesPerEU: 48
; NumVGPRsForWavesPerEU: 16
; Occupancy: 16
; WaveLimiterHint : 1
; COMPUTE_PGM_RSRC2:SCRATCH_EN: 0
; COMPUTE_PGM_RSRC2:USER_SGPR: 13
; COMPUTE_PGM_RSRC2:TRAP_HANDLER: 0
; COMPUTE_PGM_RSRC2:TGID_X_EN: 1
; COMPUTE_PGM_RSRC2:TGID_Y_EN: 1
; COMPUTE_PGM_RSRC2:TGID_Z_EN: 1
; COMPUTE_PGM_RSRC2:TIDIG_COMP_CNT: 0
	.section	.text._ZL16k_get_rows_floatI14__hip_bfloat16iEvPKT_PKiPT0_ll15HIP_vector_typeIjLj3EEmmmmmmmmm,"axG",@progbits,_ZL16k_get_rows_floatI14__hip_bfloat16iEvPKT_PKiPT0_ll15HIP_vector_typeIjLj3EEmmmmmmmmm,comdat
	.globl	_ZL16k_get_rows_floatI14__hip_bfloat16iEvPKT_PKiPT0_ll15HIP_vector_typeIjLj3EEmmmmmmmmm ; -- Begin function _ZL16k_get_rows_floatI14__hip_bfloat16iEvPKT_PKiPT0_ll15HIP_vector_typeIjLj3EEmmmmmmmmm
	.p2align	8
	.type	_ZL16k_get_rows_floatI14__hip_bfloat16iEvPKT_PKiPT0_ll15HIP_vector_typeIjLj3EEmmmmmmmmm,@function
_ZL16k_get_rows_floatI14__hip_bfloat16iEvPKT_PKiPT0_ll15HIP_vector_typeIjLj3EEmmmmmmmmm: ; @_ZL16k_get_rows_floatI14__hip_bfloat16iEvPKT_PKiPT0_ll15HIP_vector_typeIjLj3EEmmmmmmmmm
; %bb.0:
	s_clause 0x1
	s_load_b64 s[4:5], s[0:1], 0x20
	s_load_b64 s[34:35], s[0:1], 0x2c
	s_mov_b32 s2, s15
	s_mov_b32 s3, 0
	s_waitcnt lgkmcnt(0)
	s_mul_i32 s5, s35, s5
	s_mul_hi_u32 s6, s35, s4
	s_mul_i32 s36, s35, s4
	s_add_i32 s37, s6, s5
	s_delay_alu instid0(SALU_CYCLE_1) | instskip(NEXT) | instid1(VALU_DEP_1)
	v_cmp_le_i64_e64 s4, s[36:37], s[2:3]
	s_and_b32 vcc_lo, exec_lo, s4
	s_cbranch_vccnz .LBB13_6
; %bb.1:
	s_clause 0x4
	s_load_b64 s[38:39], s[0:1], 0x88
	s_load_b512 s[16:31], s[0:1], 0x38
	s_load_b64 s[40:41], s[0:1], 0x78
	s_load_b256 s[4:11], s[0:1], 0x0
	s_load_b32 s33, s[0:1], 0x28
	s_add_u32 s42, s0, 0x80
	s_addc_u32 s43, s1, 0
	s_ashr_i32 s1, s13, 31
	s_waitcnt lgkmcnt(0)
	s_and_b32 s39, s39, 0xffff
	s_mul_i32 s12, s13, s29
	s_mul_hi_u32 s15, s13, s28
	s_mul_i32 s29, s1, s28
	s_mul_i32 s45, s16, s1
	s_add_i32 s1, s15, s12
	v_mad_u64_u32 v[1:2], null, s14, s39, v[0:1]
	s_mul_i32 s0, s13, s28
	s_add_i32 s1, s1, s29
	v_mov_b32_e32 v2, 0
	s_lshl_b64 s[0:1], s[0:1], 2
	s_mul_hi_u32 s44, s16, s13
	s_add_u32 s28, s6, s0
	s_mul_i32 s17, s17, s13
	s_addc_u32 s29, s7, s1
	s_add_i32 s1, s44, s45
	s_mul_i32 s12, s16, s13
	s_add_i32 s13, s1, s17
	v_lshlrev_b64 v[3:4], 2, v[1:2]
	s_lshl_b64 s[6:7], s[12:13], 2
	v_lshlrev_b64 v[5:6], 1, v[1:2]
	s_add_u32 s1, s8, s6
	s_addc_u32 s6, s9, s7
	v_cmp_gt_i64_e64 s0, s[10:11], v[1:2]
	v_add_co_u32 v0, vcc_lo, s1, v3
	v_add_co_ci_u32_e32 v9, vcc_lo, s6, v4, vcc_lo
	v_add_co_u32 v10, vcc_lo, s4, v5
	v_add_co_ci_u32_e32 v11, vcc_lo, s5, v6, vcc_lo
	s_lshl_b64 s[4:5], s[18:19], 2
	s_lshl_b64 s[6:7], s[20:21], 2
	s_mov_b64 s[8:9], s[2:3]
	s_branch .LBB13_3
.LBB13_2:                               ;   in Loop: Header=BB13_3 Depth=1
	s_set_inst_prefetch_distance 0x2
	s_or_b32 exec_lo, exec_lo, s18
	s_add_u32 s8, s8, s38
	s_addc_u32 s9, s9, 0
	s_delay_alu instid0(SALU_CYCLE_1) | instskip(NEXT) | instid1(VALU_DEP_1)
	v_cmp_lt_i64_e64 s1, s[8:9], s[36:37]
	s_and_b32 vcc_lo, exec_lo, s1
	s_cbranch_vccz .LBB13_6
.LBB13_3:                               ; =>This Loop Header: Depth=1
                                        ;     Child Loop BB13_5 Depth 2
	s_and_saveexec_b32 s18, s0
	s_cbranch_execz .LBB13_2
; %bb.4:                                ;   in Loop: Header=BB13_3 Depth=1
	s_mul_hi_u32 s1, s8, s33
	v_dual_mov_b32 v8, v2 :: v_dual_mov_b32 v7, v1
	s_add_i32 s1, s1, s8
	s_delay_alu instid0(SALU_CYCLE_1) | instskip(NEXT) | instid1(SALU_CYCLE_1)
	s_lshr_b32 s1, s1, s34
	s_mul_i32 s2, s1, s35
	s_mul_i32 s12, s1, s31
	s_mul_hi_u32 s13, s1, s30
	s_ashr_i32 s16, s1, 31
	s_add_i32 s12, s13, s12
	s_mul_i32 s13, s16, s30
	s_sub_i32 s17, s8, s2
	s_add_i32 s13, s12, s13
	s_mul_i32 s2, s17, s41
	s_mul_hi_u32 s12, s17, s40
	s_ashr_i32 s19, s17, 31
	s_add_i32 s2, s12, s2
	s_mul_i32 s12, s1, s30
	s_mul_i32 s14, s19, s40
	s_lshl_b64 s[12:13], s[12:13], 2
	s_add_i32 s15, s2, s14
	s_load_b32 s2, s[42:43], 0x4
	s_mul_i32 s14, s17, s40
	s_add_u32 s20, s28, s12
	s_addc_u32 s21, s29, s13
	s_lshl_b64 s[12:13], s[14:15], 2
	s_mul_i32 s14, s1, s25
	s_mul_hi_u32 s15, s1, s24
	s_add_u32 s12, s20, s12
	s_addc_u32 s13, s21, s13
	s_add_i32 s14, s15, s14
	s_mul_i32 s15, s16, s24
	s_mul_hi_u32 s21, s6, s17
	s_add_i32 s20, s14, s15
	s_mul_i32 s14, s4, s16
	s_mul_hi_u32 s15, s4, s1
	s_mul_i32 s16, s1, s24
	s_add_i32 s14, s15, s14
	s_mul_i32 s15, s5, s1
	s_mul_i32 s1, s4, s1
	s_add_i32 s14, s14, s15
	s_mul_i32 s15, s6, s19
	;; [unrolled: 3-line block ×3, first 2 shown]
	s_waitcnt lgkmcnt(0)
	s_mul_i32 s2, s2, s39
	s_add_i32 s15, s15, s21
	s_add_u32 s1, s1, s44
	s_addc_u32 s14, s14, s15
	v_add_co_u32 v3, vcc_lo, v0, s1
	s_mul_i32 s1, s26, s19
	s_mul_hi_u32 s19, s26, s17
	v_add_co_ci_u32_e32 v4, vcc_lo, s14, v9, vcc_lo
	s_add_i32 s1, s19, s1
	s_mul_i32 s19, s27, s17
	s_mul_i32 s17, s26, s17
	s_lshl_b64 s[14:15], s[2:3], 2
	s_add_i32 s1, s1, s19
	s_add_u32 s16, s16, s17
	s_addc_u32 s1, s20, s1
	v_add_co_u32 v5, vcc_lo, v10, s16
	v_add_co_ci_u32_e32 v6, vcc_lo, s1, v11, vcc_lo
	s_lshl_b64 s[16:17], s[2:3], 1
	s_mov_b32 s19, 0
	s_set_inst_prefetch_distance 0x1
	.p2align	6
.LBB13_5:                               ;   Parent Loop BB13_3 Depth=1
                                        ; =>  This Inner Loop Header: Depth=2
	global_load_b32 v14, v2, s[12:13]
	v_add_co_u32 v7, vcc_lo, v7, s2
	v_add_co_ci_u32_e32 v8, vcc_lo, 0, v8, vcc_lo
	s_delay_alu instid0(VALU_DEP_1)
	v_cmp_le_i64_e32 vcc_lo, s[10:11], v[7:8]
	s_or_b32 s19, vcc_lo, s19
	s_waitcnt vmcnt(0)
	v_ashrrev_i32_e32 v15, 31, v14
	v_mul_lo_u32 v16, v14, s23
	v_mad_u64_u32 v[12:13], null, v14, s22, v[5:6]
	v_add_co_u32 v5, s1, v5, s16
	s_delay_alu instid0(VALU_DEP_4) | instskip(SKIP_1) | instid1(VALU_DEP_2)
	v_mul_lo_u32 v14, v15, s22
	v_add_co_ci_u32_e64 v6, s1, s17, v6, s1
	v_add3_u32 v13, v16, v14, v13
	global_load_u16 v12, v[12:13], off
	s_waitcnt vmcnt(0)
	v_lshlrev_b32_e32 v12, 16, v12
	s_delay_alu instid0(VALU_DEP_1) | instskip(SKIP_2) | instid1(VALU_DEP_1)
	v_cvt_i32_f32_e32 v12, v12
	global_store_b32 v[3:4], v12, off
	v_add_co_u32 v3, s1, v3, s14
	v_add_co_ci_u32_e64 v4, s1, s15, v4, s1
	s_and_not1_b32 exec_lo, exec_lo, s19
	s_cbranch_execnz .LBB13_5
	s_branch .LBB13_2
.LBB13_6:
	s_nop 0
	s_sendmsg sendmsg(MSG_DEALLOC_VGPRS)
	s_endpgm
	.section	.rodata,"a",@progbits
	.p2align	6, 0x0
	.amdhsa_kernel _ZL16k_get_rows_floatI14__hip_bfloat16iEvPKT_PKiPT0_ll15HIP_vector_typeIjLj3EEmmmmmmmmm
		.amdhsa_group_segment_fixed_size 0
		.amdhsa_private_segment_fixed_size 0
		.amdhsa_kernarg_size 384
		.amdhsa_user_sgpr_count 13
		.amdhsa_user_sgpr_dispatch_ptr 0
		.amdhsa_user_sgpr_queue_ptr 0
		.amdhsa_user_sgpr_kernarg_segment_ptr 1
		.amdhsa_user_sgpr_dispatch_id 0
		.amdhsa_user_sgpr_private_segment_size 0
		.amdhsa_wavefront_size32 1
		.amdhsa_uses_dynamic_stack 0
		.amdhsa_enable_private_segment 0
		.amdhsa_system_sgpr_workgroup_id_x 1
		.amdhsa_system_sgpr_workgroup_id_y 1
		.amdhsa_system_sgpr_workgroup_id_z 1
		.amdhsa_system_sgpr_workgroup_info 0
		.amdhsa_system_vgpr_workitem_id 0
		.amdhsa_next_free_vgpr 17
		.amdhsa_next_free_sgpr 46
		.amdhsa_reserve_vcc 1
		.amdhsa_float_round_mode_32 0
		.amdhsa_float_round_mode_16_64 0
		.amdhsa_float_denorm_mode_32 3
		.amdhsa_float_denorm_mode_16_64 3
		.amdhsa_dx10_clamp 1
		.amdhsa_ieee_mode 1
		.amdhsa_fp16_overflow 0
		.amdhsa_workgroup_processor_mode 1
		.amdhsa_memory_ordered 1
		.amdhsa_forward_progress 0
		.amdhsa_shared_vgpr_count 0
		.amdhsa_exception_fp_ieee_invalid_op 0
		.amdhsa_exception_fp_denorm_src 0
		.amdhsa_exception_fp_ieee_div_zero 0
		.amdhsa_exception_fp_ieee_overflow 0
		.amdhsa_exception_fp_ieee_underflow 0
		.amdhsa_exception_fp_ieee_inexact 0
		.amdhsa_exception_int_div_zero 0
	.end_amdhsa_kernel
	.section	.text._ZL16k_get_rows_floatI14__hip_bfloat16iEvPKT_PKiPT0_ll15HIP_vector_typeIjLj3EEmmmmmmmmm,"axG",@progbits,_ZL16k_get_rows_floatI14__hip_bfloat16iEvPKT_PKiPT0_ll15HIP_vector_typeIjLj3EEmmmmmmmmm,comdat
.Lfunc_end13:
	.size	_ZL16k_get_rows_floatI14__hip_bfloat16iEvPKT_PKiPT0_ll15HIP_vector_typeIjLj3EEmmmmmmmmm, .Lfunc_end13-_ZL16k_get_rows_floatI14__hip_bfloat16iEvPKT_PKiPT0_ll15HIP_vector_typeIjLj3EEmmmmmmmmm
                                        ; -- End function
	.section	.AMDGPU.csdata,"",@progbits
; Kernel info:
; codeLenInByte = 776
; NumSgprs: 48
; NumVgprs: 17
; ScratchSize: 0
; MemoryBound: 0
; FloatMode: 240
; IeeeMode: 1
; LDSByteSize: 0 bytes/workgroup (compile time only)
; SGPRBlocks: 5
; VGPRBlocks: 2
; NumSGPRsForWavesPerEU: 48
; NumVGPRsForWavesPerEU: 17
; Occupancy: 16
; WaveLimiterHint : 1
; COMPUTE_PGM_RSRC2:SCRATCH_EN: 0
; COMPUTE_PGM_RSRC2:USER_SGPR: 13
; COMPUTE_PGM_RSRC2:TRAP_HANDLER: 0
; COMPUTE_PGM_RSRC2:TGID_X_EN: 1
; COMPUTE_PGM_RSRC2:TGID_Y_EN: 1
; COMPUTE_PGM_RSRC2:TGID_Z_EN: 1
; COMPUTE_PGM_RSRC2:TIDIG_COMP_CNT: 0
	.section	.text._ZL10k_get_rowsILi128ELi1EXadL_ZL15dequantize_q1_0PKvliR15HIP_vector_typeIfLj2EEEEiEvS1_PKiPT2_llS2_IjLj3EEmmmmmmmmm,"axG",@progbits,_ZL10k_get_rowsILi128ELi1EXadL_ZL15dequantize_q1_0PKvliR15HIP_vector_typeIfLj2EEEEiEvS1_PKiPT2_llS2_IjLj3EEmmmmmmmmm,comdat
	.globl	_ZL10k_get_rowsILi128ELi1EXadL_ZL15dequantize_q1_0PKvliR15HIP_vector_typeIfLj2EEEEiEvS1_PKiPT2_llS2_IjLj3EEmmmmmmmmm ; -- Begin function _ZL10k_get_rowsILi128ELi1EXadL_ZL15dequantize_q1_0PKvliR15HIP_vector_typeIfLj2EEEEiEvS1_PKiPT2_llS2_IjLj3EEmmmmmmmmm
	.p2align	8
	.type	_ZL10k_get_rowsILi128ELi1EXadL_ZL15dequantize_q1_0PKvliR15HIP_vector_typeIfLj2EEEEiEvS1_PKiPT2_llS2_IjLj3EEmmmmmmmmm,@function
_ZL10k_get_rowsILi128ELi1EXadL_ZL15dequantize_q1_0PKvliR15HIP_vector_typeIfLj2EEEEiEvS1_PKiPT2_llS2_IjLj3EEmmmmmmmmm: ; @_ZL10k_get_rowsILi128ELi1EXadL_ZL15dequantize_q1_0PKvliR15HIP_vector_typeIfLj2EEEEiEvS1_PKiPT2_llS2_IjLj3EEmmmmmmmmm
; %bb.0:
	s_clause 0x1
	s_load_b128 s[4:7], s[0:1], 0x18
	s_load_b64 s[36:37], s[0:1], 0x2c
	s_mov_b32 s34, s15
	s_mov_b32 s35, 0
	s_waitcnt lgkmcnt(0)
	s_mul_i32 s2, s37, s7
	s_mul_hi_u32 s3, s37, s6
	s_mul_i32 s6, s37, s6
	s_add_i32 s7, s3, s2
	s_delay_alu instid0(SALU_CYCLE_1) | instskip(NEXT) | instid1(VALU_DEP_1)
	v_cmp_le_i64_e64 s2, s[6:7], s[34:35]
	s_and_b32 vcc_lo, exec_lo, s2
	s_cbranch_vccnz .LBB14_6
; %bb.1:
	s_clause 0x5
	s_load_b64 s[38:39], s[0:1], 0x88
	s_load_b512 s[16:31], s[0:1], 0x38
	s_load_b64 s[40:41], s[0:1], 0x78
	s_load_b128 s[8:11], s[0:1], 0x0
	s_load_b64 s[44:45], s[0:1], 0x10
	s_load_b32 s3, s[0:1], 0x28
	s_add_u32 s42, s0, 0x80
	s_addc_u32 s43, s1, 0
	s_ashr_i32 s1, s13, 31
	v_mov_b32_e32 v1, 0
	s_waitcnt lgkmcnt(0)
	s_and_b32 s33, s39, 0xffff
	s_mul_i32 s2, s13, s29
	s_mul_hi_u32 s12, s13, s28
	s_mul_i32 s15, s1, s28
	s_mul_i32 s39, s1, s16
	s_add_i32 s1, s12, s2
	s_mul_i32 s0, s13, s28
	s_add_i32 s1, s1, s15
	s_mul_i32 s14, s14, s33
	s_lshl_b64 s[0:1], s[0:1], 2
	s_mul_i32 s28, s13, s17
	s_mul_hi_u32 s29, s13, s16
	v_add_lshl_u32 v0, s14, v0, 1
	s_mul_i32 s12, s13, s16
	s_add_u32 s16, s10, s0
	s_addc_u32 s17, s11, s1
	s_add_i32 s1, s29, s28
	v_cmp_gt_i64_e64 s0, s[4:5], v[0:1]
	s_add_i32 s13, s1, s39
	v_lshlrev_b64 v[4:5], 25, v[0:1]
	v_dual_mov_b32 v2, v1 :: v_dual_mov_b32 v3, v0
	s_lshl_b64 s[10:11], s[12:13], 2
	s_delay_alu instid0(SALU_CYCLE_1)
	s_add_u32 s28, s44, s10
	s_addc_u32 s29, s45, s11
	s_mov_b64 s[10:11], s[34:35]
	s_branch .LBB14_3
.LBB14_2:                               ;   in Loop: Header=BB14_3 Depth=1
	s_or_b32 exec_lo, exec_lo, s39
	s_add_u32 s10, s10, s38
	s_addc_u32 s11, s11, 0
	s_delay_alu instid0(SALU_CYCLE_1) | instskip(NEXT) | instid1(VALU_DEP_1)
	v_cmp_ge_i64_e64 s1, s[10:11], s[6:7]
	s_and_b32 vcc_lo, exec_lo, s1
	s_cbranch_vccnz .LBB14_6
.LBB14_3:                               ; =>This Loop Header: Depth=1
                                        ;     Child Loop BB14_5 Depth 2
	s_and_saveexec_b32 s39, s0
	s_cbranch_execz .LBB14_2
; %bb.4:                                ;   in Loop: Header=BB14_3 Depth=1
	s_mul_hi_u32 s1, s10, s3
	v_dual_mov_b32 v7, v3 :: v_dual_mov_b32 v6, v2
	s_add_i32 s1, s1, s10
	v_dual_mov_b32 v9, v5 :: v_dual_mov_b32 v8, v4
	s_lshr_b32 s1, s1, s36
	v_dual_mov_b32 v11, v1 :: v_dual_mov_b32 v10, v0
	s_mul_i32 s2, s1, s37
	s_mul_i32 s12, s1, s31
	s_mul_hi_u32 s13, s1, s30
	s_ashr_i32 s34, s1, 31
	s_add_i32 s12, s13, s12
	s_mul_i32 s13, s34, s30
	s_sub_i32 s2, s10, s2
	s_add_i32 s13, s12, s13
	s_mul_i32 s12, s2, s41
	s_mul_hi_u32 s14, s2, s40
	s_ashr_i32 s46, s2, 31
	s_add_i32 s14, s14, s12
	s_mul_i32 s12, s1, s30
	s_mul_i32 s15, s46, s40
	s_lshl_b64 s[12:13], s[12:13], 2
	s_add_i32 s15, s14, s15
	s_mul_i32 s14, s2, s40
	s_add_u32 s44, s16, s12
	s_addc_u32 s45, s17, s13
	s_lshl_b64 s[12:13], s[14:15], 2
	s_mul_hi_u32 s14, s1, s18
	s_add_u32 s12, s44, s12
	s_addc_u32 s13, s45, s13
	s_load_b32 s47, s[12:13], 0x0
	s_load_b32 s48, s[42:43], 0x4
	s_mul_i32 s13, s1, s19
	s_mul_i32 s15, s34, s18
	s_add_i32 s13, s14, s13
	s_mul_i32 s12, s1, s18
	s_add_i32 s13, s13, s15
	s_mul_i32 s44, s2, s21
	s_lshl_b64 s[12:13], s[12:13], 2
	s_mul_hi_u32 s45, s2, s20
	s_mul_i32 s15, s46, s20
	s_mul_i32 s14, s2, s20
	;; [unrolled: 1-line block ×5, first 2 shown]
	s_waitcnt lgkmcnt(0)
	s_ashr_i32 s50, s47, 31
	s_add_u32 s51, s28, s12
	s_addc_u32 s52, s29, s13
	s_add_i32 s12, s45, s44
	s_mul_i32 s53, s47, s23
	s_add_i32 s15, s12, s15
	s_mul_hi_u32 s54, s47, s22
	s_lshl_b64 s[12:13], s[14:15], 2
	s_mul_i32 s50, s50, s22
	s_add_u32 s44, s51, s12
	s_addc_u32 s45, s52, s13
	s_add_i32 s12, s54, s53
	s_mul_i32 s47, s47, s22
	s_add_i32 s12, s12, s50
	s_mul_hi_u32 s14, s1, s24
	s_add_u32 s13, s8, s47
	s_addc_u32 s12, s9, s12
	s_add_i32 s14, s14, s49
	s_mul_i32 s1, s1, s24
	s_add_i32 s14, s14, s34
	s_add_u32 s1, s13, s1
	s_mul_i32 s13, s2, s27
	s_mul_hi_u32 s15, s2, s26
	s_addc_u32 s14, s12, s14
	s_add_i32 s12, s15, s13
	s_mul_i32 s2, s2, s26
	s_add_i32 s13, s12, s46
	s_mul_i32 s34, s48, s33
	s_add_u32 s12, s1, s2
	s_addc_u32 s13, s14, s13
	s_lshl_b64 s[14:15], s[34:35], 25
	s_mov_b32 s46, 0
	s_mov_b32 s47, s34
.LBB14_5:                               ;   Parent Loop BB14_3 Depth=1
                                        ; =>  This Inner Loop Header: Depth=2
	v_and_b32_e32 v14, 0x7f, v10
	v_mad_i64_i32 v[12:13], null, v9, 18, s[12:13]
	v_bfe_u32 v15, v10, 3, 4
	s_delay_alu instid0(VALU_DEP_3) | instskip(NEXT) | instid1(VALU_DEP_2)
	v_add_nc_u32_e32 v18, 1, v14
	v_add_co_u32 v14, vcc_lo, v12, v15
	s_delay_alu instid0(VALU_DEP_2) | instskip(SKIP_1) | instid1(VALU_DEP_2)
	v_lshrrev_b32_e32 v16, 3, v18
	v_add_co_ci_u32_e32 v15, vcc_lo, 0, v13, vcc_lo
	v_add_co_u32 v16, vcc_lo, v12, v16
	v_add_co_ci_u32_e32 v17, vcc_lo, 0, v13, vcc_lo
	s_clause 0x2
	global_load_u16 v19, v[12:13], off
	global_load_u8 v14, v[14:15], off offset:2
	global_load_u8 v15, v[16:17], off offset:2
	v_and_b32_e32 v16, 7, v10
	v_and_b32_e32 v17, 7, v18
	v_add_co_u32 v10, vcc_lo, v10, s34
	v_ashrrev_i64 v[12:13], 30, v[6:7]
	v_add_co_ci_u32_e32 v11, vcc_lo, 0, v11, vcc_lo
	v_add_co_u32 v8, vcc_lo, v8, s14
	v_add_co_ci_u32_e32 v9, vcc_lo, s15, v9, vcc_lo
	s_delay_alu instid0(VALU_DEP_3) | instskip(SKIP_2) | instid1(VALU_DEP_1)
	v_cmp_le_i64_e64 s1, s[4:5], v[10:11]
	v_add_co_u32 v6, vcc_lo, v6, 0
	v_add_co_u32 v12, s2, s44, v12
	v_add_co_ci_u32_e64 v13, s2, s45, v13, s2
	v_add_co_ci_u32_e32 v7, vcc_lo, s47, v7, vcc_lo
	s_or_b32 s46, s1, s46
	s_waitcnt vmcnt(1)
	v_lshrrev_b32_e32 v14, v16, v14
	s_waitcnt vmcnt(0)
	v_lshrrev_b32_e32 v15, v17, v15
	v_cvt_f32_f16_e32 v16, v19
	s_delay_alu instid0(VALU_DEP_3) | instskip(NEXT) | instid1(VALU_DEP_1)
	v_lshlrev_b32_e32 v14, 1, v14
	v_and_b32_e32 v14, 2, v14
	s_delay_alu instid0(VALU_DEP_1) | instskip(NEXT) | instid1(VALU_DEP_1)
	v_add_nc_u32_e32 v14, -1, v14
	v_cvt_f32_i32_e32 v14, v14
	s_delay_alu instid0(VALU_DEP_1) | instskip(NEXT) | instid1(VALU_DEP_1)
	v_dual_mul_f32 v14, v16, v14 :: v_dual_lshlrev_b32 v15, 1, v15
	v_and_b32_e32 v15, 2, v15
	s_delay_alu instid0(VALU_DEP_2) | instskip(NEXT) | instid1(VALU_DEP_2)
	v_cvt_i32_f32_e32 v14, v14
	v_add_nc_u32_e32 v15, -1, v15
	s_delay_alu instid0(VALU_DEP_1) | instskip(NEXT) | instid1(VALU_DEP_1)
	v_cvt_f32_i32_e32 v15, v15
	v_mul_f32_e32 v15, v16, v15
	s_delay_alu instid0(VALU_DEP_1)
	v_cvt_i32_f32_e32 v15, v15
	global_store_b64 v[12:13], v[14:15], off
	s_and_not1_b32 exec_lo, exec_lo, s46
	s_cbranch_execnz .LBB14_5
	s_branch .LBB14_2
.LBB14_6:
	s_nop 0
	s_sendmsg sendmsg(MSG_DEALLOC_VGPRS)
	s_endpgm
	.section	.rodata,"a",@progbits
	.p2align	6, 0x0
	.amdhsa_kernel _ZL10k_get_rowsILi128ELi1EXadL_ZL15dequantize_q1_0PKvliR15HIP_vector_typeIfLj2EEEEiEvS1_PKiPT2_llS2_IjLj3EEmmmmmmmmm
		.amdhsa_group_segment_fixed_size 0
		.amdhsa_private_segment_fixed_size 0
		.amdhsa_kernarg_size 384
		.amdhsa_user_sgpr_count 13
		.amdhsa_user_sgpr_dispatch_ptr 0
		.amdhsa_user_sgpr_queue_ptr 0
		.amdhsa_user_sgpr_kernarg_segment_ptr 1
		.amdhsa_user_sgpr_dispatch_id 0
		.amdhsa_user_sgpr_private_segment_size 0
		.amdhsa_wavefront_size32 1
		.amdhsa_uses_dynamic_stack 0
		.amdhsa_enable_private_segment 0
		.amdhsa_system_sgpr_workgroup_id_x 1
		.amdhsa_system_sgpr_workgroup_id_y 1
		.amdhsa_system_sgpr_workgroup_id_z 1
		.amdhsa_system_sgpr_workgroup_info 0
		.amdhsa_system_vgpr_workitem_id 0
		.amdhsa_next_free_vgpr 20
		.amdhsa_next_free_sgpr 55
		.amdhsa_reserve_vcc 1
		.amdhsa_float_round_mode_32 0
		.amdhsa_float_round_mode_16_64 0
		.amdhsa_float_denorm_mode_32 3
		.amdhsa_float_denorm_mode_16_64 3
		.amdhsa_dx10_clamp 1
		.amdhsa_ieee_mode 1
		.amdhsa_fp16_overflow 0
		.amdhsa_workgroup_processor_mode 1
		.amdhsa_memory_ordered 1
		.amdhsa_forward_progress 0
		.amdhsa_shared_vgpr_count 0
		.amdhsa_exception_fp_ieee_invalid_op 0
		.amdhsa_exception_fp_denorm_src 0
		.amdhsa_exception_fp_ieee_div_zero 0
		.amdhsa_exception_fp_ieee_overflow 0
		.amdhsa_exception_fp_ieee_underflow 0
		.amdhsa_exception_fp_ieee_inexact 0
		.amdhsa_exception_int_div_zero 0
	.end_amdhsa_kernel
	.section	.text._ZL10k_get_rowsILi128ELi1EXadL_ZL15dequantize_q1_0PKvliR15HIP_vector_typeIfLj2EEEEiEvS1_PKiPT2_llS2_IjLj3EEmmmmmmmmm,"axG",@progbits,_ZL10k_get_rowsILi128ELi1EXadL_ZL15dequantize_q1_0PKvliR15HIP_vector_typeIfLj2EEEEiEvS1_PKiPT2_llS2_IjLj3EEmmmmmmmmm,comdat
.Lfunc_end14:
	.size	_ZL10k_get_rowsILi128ELi1EXadL_ZL15dequantize_q1_0PKvliR15HIP_vector_typeIfLj2EEEEiEvS1_PKiPT2_llS2_IjLj3EEmmmmmmmmm, .Lfunc_end14-_ZL10k_get_rowsILi128ELi1EXadL_ZL15dequantize_q1_0PKvliR15HIP_vector_typeIfLj2EEEEiEvS1_PKiPT2_llS2_IjLj3EEmmmmmmmmm
                                        ; -- End function
	.section	.AMDGPU.csdata,"",@progbits
; Kernel info:
; codeLenInByte = 944
; NumSgprs: 57
; NumVgprs: 20
; ScratchSize: 0
; MemoryBound: 0
; FloatMode: 240
; IeeeMode: 1
; LDSByteSize: 0 bytes/workgroup (compile time only)
; SGPRBlocks: 7
; VGPRBlocks: 2
; NumSGPRsForWavesPerEU: 57
; NumVGPRsForWavesPerEU: 20
; Occupancy: 16
; WaveLimiterHint : 1
; COMPUTE_PGM_RSRC2:SCRATCH_EN: 0
; COMPUTE_PGM_RSRC2:USER_SGPR: 13
; COMPUTE_PGM_RSRC2:TRAP_HANDLER: 0
; COMPUTE_PGM_RSRC2:TGID_X_EN: 1
; COMPUTE_PGM_RSRC2:TGID_Y_EN: 1
; COMPUTE_PGM_RSRC2:TGID_Z_EN: 1
; COMPUTE_PGM_RSRC2:TIDIG_COMP_CNT: 0
	.section	.text._ZL10k_get_rowsILi32ELi2EXadL_ZL15dequantize_q4_0PKvliR15HIP_vector_typeIfLj2EEEEiEvS1_PKiPT2_llS2_IjLj3EEmmmmmmmmm,"axG",@progbits,_ZL10k_get_rowsILi32ELi2EXadL_ZL15dequantize_q4_0PKvliR15HIP_vector_typeIfLj2EEEEiEvS1_PKiPT2_llS2_IjLj3EEmmmmmmmmm,comdat
	.globl	_ZL10k_get_rowsILi32ELi2EXadL_ZL15dequantize_q4_0PKvliR15HIP_vector_typeIfLj2EEEEiEvS1_PKiPT2_llS2_IjLj3EEmmmmmmmmm ; -- Begin function _ZL10k_get_rowsILi32ELi2EXadL_ZL15dequantize_q4_0PKvliR15HIP_vector_typeIfLj2EEEEiEvS1_PKiPT2_llS2_IjLj3EEmmmmmmmmm
	.p2align	8
	.type	_ZL10k_get_rowsILi32ELi2EXadL_ZL15dequantize_q4_0PKvliR15HIP_vector_typeIfLj2EEEEiEvS1_PKiPT2_llS2_IjLj3EEmmmmmmmmm,@function
_ZL10k_get_rowsILi32ELi2EXadL_ZL15dequantize_q4_0PKvliR15HIP_vector_typeIfLj2EEEEiEvS1_PKiPT2_llS2_IjLj3EEmmmmmmmmm: ; @_ZL10k_get_rowsILi32ELi2EXadL_ZL15dequantize_q4_0PKvliR15HIP_vector_typeIfLj2EEEEiEvS1_PKiPT2_llS2_IjLj3EEmmmmmmmmm
; %bb.0:
	s_clause 0x1
	s_load_b128 s[4:7], s[0:1], 0x18
	s_load_b64 s[36:37], s[0:1], 0x2c
	s_mov_b32 s34, s15
	s_mov_b32 s35, 0
	s_waitcnt lgkmcnt(0)
	s_mul_i32 s2, s37, s7
	s_mul_hi_u32 s3, s37, s6
	s_mul_i32 s6, s37, s6
	s_add_i32 s7, s3, s2
	s_delay_alu instid0(SALU_CYCLE_1) | instskip(NEXT) | instid1(VALU_DEP_1)
	v_cmp_le_i64_e64 s2, s[6:7], s[34:35]
	s_and_b32 vcc_lo, exec_lo, s2
	s_cbranch_vccnz .LBB15_6
; %bb.1:
	s_clause 0x5
	s_load_b64 s[38:39], s[0:1], 0x88
	s_load_b512 s[16:31], s[0:1], 0x38
	s_load_b64 s[40:41], s[0:1], 0x78
	s_load_b128 s[8:11], s[0:1], 0x0
	s_load_b64 s[44:45], s[0:1], 0x10
	s_load_b32 s3, s[0:1], 0x28
	s_add_u32 s42, s0, 0x80
	s_addc_u32 s43, s1, 0
	s_ashr_i32 s1, s13, 31
	v_mov_b32_e32 v1, 0
	s_waitcnt lgkmcnt(0)
	s_and_b32 s33, s39, 0xffff
	s_mul_i32 s2, s13, s29
	s_mul_hi_u32 s12, s13, s28
	s_mul_i32 s15, s1, s28
	s_mul_i32 s39, s1, s16
	s_add_i32 s1, s12, s2
	s_mul_i32 s0, s13, s28
	s_add_i32 s1, s1, s15
	s_mul_i32 s14, s14, s33
	s_lshl_b64 s[0:1], s[0:1], 2
	s_mul_i32 s28, s13, s17
	s_mul_hi_u32 s29, s13, s16
	v_add_lshl_u32 v0, s14, v0, 1
	s_mul_i32 s12, s13, s16
	s_add_u32 s16, s10, s0
	s_addc_u32 s17, s11, s1
	s_add_i32 s1, s29, s28
	v_cmp_gt_i64_e64 s0, s[4:5], v[0:1]
	s_add_i32 s13, s1, s39
	v_lshlrev_b64 v[2:3], 27, v[0:1]
	s_lshl_b64 s[10:11], s[12:13], 2
	s_delay_alu instid0(SALU_CYCLE_1)
	s_add_u32 s28, s44, s10
	s_addc_u32 s29, s45, s11
	s_mov_b64 s[10:11], s[34:35]
	s_branch .LBB15_3
.LBB15_2:                               ;   in Loop: Header=BB15_3 Depth=1
	s_or_b32 exec_lo, exec_lo, s39
	s_add_u32 s10, s10, s38
	s_addc_u32 s11, s11, 0
	s_delay_alu instid0(SALU_CYCLE_1) | instskip(NEXT) | instid1(VALU_DEP_1)
	v_cmp_ge_i64_e64 s1, s[10:11], s[6:7]
	s_and_b32 vcc_lo, exec_lo, s1
	s_cbranch_vccnz .LBB15_6
.LBB15_3:                               ; =>This Loop Header: Depth=1
                                        ;     Child Loop BB15_5 Depth 2
	s_and_saveexec_b32 s39, s0
	s_cbranch_execz .LBB15_2
; %bb.4:                                ;   in Loop: Header=BB15_3 Depth=1
	s_mul_hi_u32 s1, s10, s3
	v_dual_mov_b32 v5, v3 :: v_dual_mov_b32 v4, v2
	s_add_i32 s1, s1, s10
	v_dual_mov_b32 v7, v1 :: v_dual_mov_b32 v6, v0
	s_lshr_b32 s1, s1, s36
	s_delay_alu instid0(SALU_CYCLE_1)
	s_mul_i32 s2, s1, s37
	s_mul_i32 s12, s1, s31
	s_mul_hi_u32 s13, s1, s30
	s_ashr_i32 s34, s1, 31
	s_add_i32 s12, s13, s12
	s_mul_i32 s13, s34, s30
	s_sub_i32 s2, s10, s2
	s_add_i32 s13, s12, s13
	s_mul_i32 s12, s2, s41
	s_mul_hi_u32 s14, s2, s40
	s_ashr_i32 s46, s2, 31
	s_add_i32 s14, s14, s12
	s_mul_i32 s12, s1, s30
	s_mul_i32 s15, s46, s40
	s_lshl_b64 s[12:13], s[12:13], 2
	s_add_i32 s15, s14, s15
	s_mul_i32 s14, s2, s40
	s_add_u32 s44, s16, s12
	s_addc_u32 s45, s17, s13
	s_lshl_b64 s[12:13], s[14:15], 2
	s_mul_hi_u32 s14, s1, s18
	s_add_u32 s12, s44, s12
	s_addc_u32 s13, s45, s13
	s_load_b32 s47, s[12:13], 0x0
	s_load_b32 s48, s[42:43], 0x4
	s_mul_i32 s13, s1, s19
	s_mul_i32 s15, s34, s18
	s_add_i32 s13, s14, s13
	s_mul_i32 s12, s1, s18
	s_add_i32 s13, s13, s15
	s_mul_i32 s44, s2, s21
	s_lshl_b64 s[12:13], s[12:13], 2
	s_mul_hi_u32 s45, s2, s20
	s_mul_i32 s15, s46, s20
	s_mul_i32 s14, s2, s20
	;; [unrolled: 1-line block ×5, first 2 shown]
	s_waitcnt lgkmcnt(0)
	s_ashr_i32 s50, s47, 31
	s_add_u32 s51, s28, s12
	s_addc_u32 s52, s29, s13
	s_add_i32 s12, s45, s44
	s_mul_i32 s53, s47, s23
	s_add_i32 s15, s12, s15
	s_mul_hi_u32 s54, s47, s22
	s_lshl_b64 s[12:13], s[14:15], 2
	s_mul_i32 s50, s50, s22
	s_add_u32 s44, s51, s12
	s_addc_u32 s45, s52, s13
	s_add_i32 s12, s54, s53
	s_mul_i32 s47, s47, s22
	s_add_i32 s12, s12, s50
	s_mul_hi_u32 s14, s1, s24
	s_add_u32 s13, s8, s47
	s_addc_u32 s12, s9, s12
	s_add_i32 s14, s14, s49
	s_mul_i32 s1, s1, s24
	s_add_i32 s14, s14, s34
	s_add_u32 s1, s13, s1
	s_mul_i32 s13, s2, s27
	s_mul_hi_u32 s15, s2, s26
	s_addc_u32 s14, s12, s14
	s_add_i32 s12, s15, s13
	s_mul_i32 s2, s2, s26
	s_add_i32 s13, s12, s46
	s_mul_i32 s34, s48, s33
	s_add_u32 s12, s1, s2
	s_addc_u32 s13, s14, s13
	s_lshl_b64 s[14:15], s[34:35], 27
	s_mov_b32 s46, 0
.LBB15_5:                               ;   Parent Loop BB15_3 Depth=1
                                        ; =>  This Inner Loop Header: Depth=2
	v_mad_i64_i32 v[8:9], null, v5, 18, s[12:13]
	v_bfe_u32 v12, v6, 1, 4
	s_delay_alu instid0(VALU_DEP_1) | instskip(NEXT) | instid1(VALU_DEP_3)
	v_add_co_u32 v10, vcc_lo, v8, v12
	v_add_co_ci_u32_e32 v11, vcc_lo, 0, v9, vcc_lo
	v_add_co_u32 v4, vcc_lo, v4, s14
	s_clause 0x1
	global_load_u16 v13, v[8:9], off
	global_load_u8 v9, v[10:11], off offset:2
	v_and_or_b32 v8, 0xffffffe0, v6, v12
	v_add_co_u32 v6, s1, v6, s34
	s_delay_alu instid0(VALU_DEP_1) | instskip(SKIP_1) | instid1(VALU_DEP_2)
	v_add_co_ci_u32_e64 v7, s1, 0, v7, s1
	v_add_co_ci_u32_e32 v5, vcc_lo, s15, v5, vcc_lo
	v_cmp_le_i64_e64 s1, s[4:5], v[6:7]
	s_delay_alu instid0(VALU_DEP_1) | instskip(SKIP_4) | instid1(VALU_DEP_1)
	s_or_b32 s46, s1, s46
	s_waitcnt vmcnt(1)
	v_cvt_f32_f16_e32 v12, v13
	s_waitcnt vmcnt(0)
	v_lshrrev_b32_e32 v11, 4, v9
	v_add_nc_u32_e32 v11, -8, v11
	s_delay_alu instid0(VALU_DEP_1) | instskip(SKIP_2) | instid1(VALU_DEP_2)
	v_cvt_f32_i32_e32 v11, v11
	v_and_b32_e32 v10, 15, v9
	v_ashrrev_i32_e32 v9, 31, v8
	v_dual_mul_f32 v11, v12, v11 :: v_dual_add_nc_u32 v10, -8, v10
	s_delay_alu instid0(VALU_DEP_2) | instskip(NEXT) | instid1(VALU_DEP_2)
	v_lshlrev_b64 v[8:9], 2, v[8:9]
	v_cvt_i32_f32_e32 v11, v11
	s_delay_alu instid0(VALU_DEP_3) | instskip(NEXT) | instid1(VALU_DEP_3)
	v_cvt_f32_i32_e32 v10, v10
	v_add_co_u32 v8, s2, s44, v8
	s_delay_alu instid0(VALU_DEP_1) | instskip(NEXT) | instid1(VALU_DEP_3)
	v_add_co_ci_u32_e64 v9, s2, s45, v9, s2
	v_mul_f32_e32 v10, v12, v10
	s_delay_alu instid0(VALU_DEP_1)
	v_cvt_i32_f32_e32 v10, v10
	s_clause 0x1
	global_store_b32 v[8:9], v10, off
	global_store_b32 v[8:9], v11, off offset:64
	s_and_not1_b32 exec_lo, exec_lo, s46
	s_cbranch_execnz .LBB15_5
	s_branch .LBB15_2
.LBB15_6:
	s_nop 0
	s_sendmsg sendmsg(MSG_DEALLOC_VGPRS)
	s_endpgm
	.section	.rodata,"a",@progbits
	.p2align	6, 0x0
	.amdhsa_kernel _ZL10k_get_rowsILi32ELi2EXadL_ZL15dequantize_q4_0PKvliR15HIP_vector_typeIfLj2EEEEiEvS1_PKiPT2_llS2_IjLj3EEmmmmmmmmm
		.amdhsa_group_segment_fixed_size 0
		.amdhsa_private_segment_fixed_size 0
		.amdhsa_kernarg_size 384
		.amdhsa_user_sgpr_count 13
		.amdhsa_user_sgpr_dispatch_ptr 0
		.amdhsa_user_sgpr_queue_ptr 0
		.amdhsa_user_sgpr_kernarg_segment_ptr 1
		.amdhsa_user_sgpr_dispatch_id 0
		.amdhsa_user_sgpr_private_segment_size 0
		.amdhsa_wavefront_size32 1
		.amdhsa_uses_dynamic_stack 0
		.amdhsa_enable_private_segment 0
		.amdhsa_system_sgpr_workgroup_id_x 1
		.amdhsa_system_sgpr_workgroup_id_y 1
		.amdhsa_system_sgpr_workgroup_id_z 1
		.amdhsa_system_sgpr_workgroup_info 0
		.amdhsa_system_vgpr_workitem_id 0
		.amdhsa_next_free_vgpr 14
		.amdhsa_next_free_sgpr 55
		.amdhsa_reserve_vcc 1
		.amdhsa_float_round_mode_32 0
		.amdhsa_float_round_mode_16_64 0
		.amdhsa_float_denorm_mode_32 3
		.amdhsa_float_denorm_mode_16_64 3
		.amdhsa_dx10_clamp 1
		.amdhsa_ieee_mode 1
		.amdhsa_fp16_overflow 0
		.amdhsa_workgroup_processor_mode 1
		.amdhsa_memory_ordered 1
		.amdhsa_forward_progress 0
		.amdhsa_shared_vgpr_count 0
		.amdhsa_exception_fp_ieee_invalid_op 0
		.amdhsa_exception_fp_denorm_src 0
		.amdhsa_exception_fp_ieee_div_zero 0
		.amdhsa_exception_fp_ieee_overflow 0
		.amdhsa_exception_fp_ieee_underflow 0
		.amdhsa_exception_fp_ieee_inexact 0
		.amdhsa_exception_int_div_zero 0
	.end_amdhsa_kernel
	.section	.text._ZL10k_get_rowsILi32ELi2EXadL_ZL15dequantize_q4_0PKvliR15HIP_vector_typeIfLj2EEEEiEvS1_PKiPT2_llS2_IjLj3EEmmmmmmmmm,"axG",@progbits,_ZL10k_get_rowsILi32ELi2EXadL_ZL15dequantize_q4_0PKvliR15HIP_vector_typeIfLj2EEEEiEvS1_PKiPT2_llS2_IjLj3EEmmmmmmmmm,comdat
.Lfunc_end15:
	.size	_ZL10k_get_rowsILi32ELi2EXadL_ZL15dequantize_q4_0PKvliR15HIP_vector_typeIfLj2EEEEiEvS1_PKiPT2_llS2_IjLj3EEmmmmmmmmm, .Lfunc_end15-_ZL10k_get_rowsILi32ELi2EXadL_ZL15dequantize_q4_0PKvliR15HIP_vector_typeIfLj2EEEEiEvS1_PKiPT2_llS2_IjLj3EEmmmmmmmmm
                                        ; -- End function
	.section	.AMDGPU.csdata,"",@progbits
; Kernel info:
; codeLenInByte = 884
; NumSgprs: 57
; NumVgprs: 14
; ScratchSize: 0
; MemoryBound: 0
; FloatMode: 240
; IeeeMode: 1
; LDSByteSize: 0 bytes/workgroup (compile time only)
; SGPRBlocks: 7
; VGPRBlocks: 1
; NumSGPRsForWavesPerEU: 57
; NumVGPRsForWavesPerEU: 14
; Occupancy: 16
; WaveLimiterHint : 1
; COMPUTE_PGM_RSRC2:SCRATCH_EN: 0
; COMPUTE_PGM_RSRC2:USER_SGPR: 13
; COMPUTE_PGM_RSRC2:TRAP_HANDLER: 0
; COMPUTE_PGM_RSRC2:TGID_X_EN: 1
; COMPUTE_PGM_RSRC2:TGID_Y_EN: 1
; COMPUTE_PGM_RSRC2:TGID_Z_EN: 1
; COMPUTE_PGM_RSRC2:TIDIG_COMP_CNT: 0
	.section	.text._ZL10k_get_rowsILi32ELi2EXadL_ZL15dequantize_q4_1PKvliR15HIP_vector_typeIfLj2EEEEiEvS1_PKiPT2_llS2_IjLj3EEmmmmmmmmm,"axG",@progbits,_ZL10k_get_rowsILi32ELi2EXadL_ZL15dequantize_q4_1PKvliR15HIP_vector_typeIfLj2EEEEiEvS1_PKiPT2_llS2_IjLj3EEmmmmmmmmm,comdat
	.globl	_ZL10k_get_rowsILi32ELi2EXadL_ZL15dequantize_q4_1PKvliR15HIP_vector_typeIfLj2EEEEiEvS1_PKiPT2_llS2_IjLj3EEmmmmmmmmm ; -- Begin function _ZL10k_get_rowsILi32ELi2EXadL_ZL15dequantize_q4_1PKvliR15HIP_vector_typeIfLj2EEEEiEvS1_PKiPT2_llS2_IjLj3EEmmmmmmmmm
	.p2align	8
	.type	_ZL10k_get_rowsILi32ELi2EXadL_ZL15dequantize_q4_1PKvliR15HIP_vector_typeIfLj2EEEEiEvS1_PKiPT2_llS2_IjLj3EEmmmmmmmmm,@function
_ZL10k_get_rowsILi32ELi2EXadL_ZL15dequantize_q4_1PKvliR15HIP_vector_typeIfLj2EEEEiEvS1_PKiPT2_llS2_IjLj3EEmmmmmmmmm: ; @_ZL10k_get_rowsILi32ELi2EXadL_ZL15dequantize_q4_1PKvliR15HIP_vector_typeIfLj2EEEEiEvS1_PKiPT2_llS2_IjLj3EEmmmmmmmmm
; %bb.0:
	s_clause 0x1
	s_load_b128 s[4:7], s[0:1], 0x18
	s_load_b64 s[36:37], s[0:1], 0x2c
	s_mov_b32 s34, s15
	s_mov_b32 s35, 0
	s_waitcnt lgkmcnt(0)
	s_mul_i32 s2, s37, s7
	s_mul_hi_u32 s3, s37, s6
	s_mul_i32 s6, s37, s6
	s_add_i32 s7, s3, s2
	s_delay_alu instid0(SALU_CYCLE_1) | instskip(NEXT) | instid1(VALU_DEP_1)
	v_cmp_le_i64_e64 s2, s[6:7], s[34:35]
	s_and_b32 vcc_lo, exec_lo, s2
	s_cbranch_vccnz .LBB16_6
; %bb.1:
	s_clause 0x5
	s_load_b64 s[38:39], s[0:1], 0x88
	s_load_b512 s[16:31], s[0:1], 0x38
	s_load_b64 s[40:41], s[0:1], 0x78
	s_load_b128 s[8:11], s[0:1], 0x0
	s_load_b64 s[44:45], s[0:1], 0x10
	s_load_b32 s3, s[0:1], 0x28
	s_add_u32 s42, s0, 0x80
	s_addc_u32 s43, s1, 0
	s_ashr_i32 s1, s13, 31
	v_mov_b32_e32 v1, 0
	s_waitcnt lgkmcnt(0)
	s_and_b32 s33, s39, 0xffff
	s_mul_i32 s2, s13, s29
	s_mul_hi_u32 s12, s13, s28
	s_mul_i32 s15, s1, s28
	s_mul_i32 s39, s1, s16
	s_add_i32 s1, s12, s2
	s_mul_i32 s0, s13, s28
	s_add_i32 s1, s1, s15
	s_mul_i32 s14, s14, s33
	s_lshl_b64 s[0:1], s[0:1], 2
	s_mul_i32 s28, s13, s17
	s_mul_hi_u32 s29, s13, s16
	v_add_lshl_u32 v0, s14, v0, 1
	s_mul_i32 s12, s13, s16
	s_add_u32 s16, s10, s0
	s_addc_u32 s17, s11, s1
	s_add_i32 s1, s29, s28
	v_cmp_gt_i64_e64 s0, s[4:5], v[0:1]
	s_add_i32 s13, s1, s39
	v_lshlrev_b64 v[2:3], 27, v[0:1]
	s_lshl_b64 s[10:11], s[12:13], 2
	s_delay_alu instid0(SALU_CYCLE_1)
	s_add_u32 s28, s44, s10
	s_addc_u32 s29, s45, s11
	s_mov_b64 s[10:11], s[34:35]
	s_branch .LBB16_3
.LBB16_2:                               ;   in Loop: Header=BB16_3 Depth=1
	s_set_inst_prefetch_distance 0x2
	s_or_b32 exec_lo, exec_lo, s39
	s_add_u32 s10, s10, s38
	s_addc_u32 s11, s11, 0
	s_delay_alu instid0(SALU_CYCLE_1) | instskip(NEXT) | instid1(VALU_DEP_1)
	v_cmp_ge_i64_e64 s1, s[10:11], s[6:7]
	s_and_b32 vcc_lo, exec_lo, s1
	s_cbranch_vccnz .LBB16_6
.LBB16_3:                               ; =>This Loop Header: Depth=1
                                        ;     Child Loop BB16_5 Depth 2
	s_and_saveexec_b32 s39, s0
	s_cbranch_execz .LBB16_2
; %bb.4:                                ;   in Loop: Header=BB16_3 Depth=1
	s_mul_hi_u32 s1, s10, s3
	v_dual_mov_b32 v5, v3 :: v_dual_mov_b32 v4, v2
	s_add_i32 s1, s1, s10
	v_dual_mov_b32 v7, v1 :: v_dual_mov_b32 v6, v0
	s_lshr_b32 s1, s1, s36
	s_delay_alu instid0(SALU_CYCLE_1)
	s_mul_i32 s2, s1, s37
	s_mul_i32 s12, s1, s31
	s_mul_hi_u32 s13, s1, s30
	s_ashr_i32 s34, s1, 31
	s_add_i32 s12, s13, s12
	s_mul_i32 s13, s34, s30
	s_sub_i32 s2, s10, s2
	s_add_i32 s13, s12, s13
	s_mul_i32 s12, s2, s41
	s_mul_hi_u32 s14, s2, s40
	s_ashr_i32 s46, s2, 31
	s_add_i32 s14, s14, s12
	s_mul_i32 s12, s1, s30
	s_mul_i32 s15, s46, s40
	s_lshl_b64 s[12:13], s[12:13], 2
	s_add_i32 s15, s14, s15
	s_mul_i32 s14, s2, s40
	s_add_u32 s44, s16, s12
	s_addc_u32 s45, s17, s13
	s_lshl_b64 s[12:13], s[14:15], 2
	s_mul_hi_u32 s14, s1, s18
	s_add_u32 s12, s44, s12
	s_addc_u32 s13, s45, s13
	s_load_b32 s47, s[12:13], 0x0
	s_load_b32 s48, s[42:43], 0x4
	s_mul_i32 s13, s1, s19
	s_mul_i32 s15, s34, s18
	s_add_i32 s13, s14, s13
	s_mul_i32 s12, s1, s18
	s_add_i32 s13, s13, s15
	s_mul_i32 s44, s2, s21
	s_lshl_b64 s[12:13], s[12:13], 2
	s_mul_hi_u32 s45, s2, s20
	s_mul_i32 s15, s46, s20
	s_mul_i32 s14, s2, s20
	;; [unrolled: 1-line block ×5, first 2 shown]
	s_waitcnt lgkmcnt(0)
	s_ashr_i32 s50, s47, 31
	s_add_u32 s51, s28, s12
	s_addc_u32 s52, s29, s13
	s_add_i32 s12, s45, s44
	s_mul_i32 s53, s47, s23
	s_add_i32 s15, s12, s15
	s_mul_hi_u32 s54, s47, s22
	s_lshl_b64 s[12:13], s[14:15], 2
	s_mul_i32 s50, s50, s22
	s_add_u32 s44, s51, s12
	s_addc_u32 s45, s52, s13
	s_add_i32 s12, s54, s53
	s_mul_i32 s47, s47, s22
	s_add_i32 s12, s12, s50
	s_mul_hi_u32 s14, s1, s24
	s_add_u32 s13, s8, s47
	s_addc_u32 s12, s9, s12
	s_add_i32 s14, s14, s49
	s_mul_i32 s1, s1, s24
	s_add_i32 s14, s14, s34
	s_add_u32 s1, s13, s1
	s_mul_i32 s13, s2, s27
	s_mul_hi_u32 s15, s2, s26
	s_addc_u32 s14, s12, s14
	s_add_i32 s12, s15, s13
	s_mul_i32 s2, s2, s26
	s_add_i32 s13, s12, s46
	s_mul_i32 s34, s48, s33
	s_add_u32 s12, s1, s2
	s_addc_u32 s13, s14, s13
	s_lshl_b64 s[14:15], s[34:35], 27
	s_mov_b32 s46, 0
	s_set_inst_prefetch_distance 0x1
	.p2align	6
.LBB16_5:                               ;   Parent Loop BB16_3 Depth=1
                                        ; =>  This Inner Loop Header: Depth=2
	v_mad_i64_i32 v[8:9], null, v5, 20, s[12:13]
	v_bfe_u32 v12, v6, 1, 4
	s_delay_alu instid0(VALU_DEP_1) | instskip(NEXT) | instid1(VALU_DEP_3)
	v_add_co_u32 v10, vcc_lo, v8, v12
	v_add_co_ci_u32_e32 v11, vcc_lo, 0, v9, vcc_lo
	v_add_co_u32 v4, vcc_lo, v4, s14
	s_clause 0x1
	global_load_b32 v13, v[8:9], off
	global_load_u8 v10, v[10:11], off offset:4
	v_and_or_b32 v8, 0xffffffe0, v6, v12
	v_add_co_u32 v6, s1, v6, s34
	s_delay_alu instid0(VALU_DEP_1) | instskip(NEXT) | instid1(VALU_DEP_3)
	v_add_co_ci_u32_e64 v7, s1, 0, v7, s1
	v_ashrrev_i32_e32 v9, 31, v8
	v_add_co_ci_u32_e32 v5, vcc_lo, s15, v5, vcc_lo
	s_delay_alu instid0(VALU_DEP_3) | instskip(NEXT) | instid1(VALU_DEP_3)
	v_cmp_le_i64_e64 s1, s[4:5], v[6:7]
	v_lshlrev_b64 v[8:9], 2, v[8:9]
	s_delay_alu instid0(VALU_DEP_2) | instskip(NEXT) | instid1(VALU_DEP_1)
	s_or_b32 s46, s1, s46
	v_add_co_u32 v8, s2, s44, v8
	s_delay_alu instid0(VALU_DEP_1) | instskip(SKIP_3) | instid1(VALU_DEP_2)
	v_add_co_ci_u32_e64 v9, s2, s45, v9, s2
	s_waitcnt vmcnt(0)
	v_and_b32_e32 v11, 15, v10
	v_lshrrev_b32_e32 v10, 4, v10
	v_cvt_f32_ubyte0_e32 v11, v11
	s_delay_alu instid0(VALU_DEP_2) | instskip(NEXT) | instid1(VALU_DEP_2)
	v_cvt_f32_ubyte0_e32 v10, v10
	v_fma_mix_f32 v11, v13, v11, v13 op_sel:[0,0,1] op_sel_hi:[1,0,1]
	s_delay_alu instid0(VALU_DEP_2) | instskip(NEXT) | instid1(VALU_DEP_2)
	v_fma_mix_f32 v10, v13, v10, v13 op_sel:[0,0,1] op_sel_hi:[1,0,1]
	v_cvt_i32_f32_e32 v11, v11
	s_delay_alu instid0(VALU_DEP_2)
	v_cvt_i32_f32_e32 v10, v10
	s_clause 0x1
	global_store_b32 v[8:9], v11, off
	global_store_b32 v[8:9], v10, off offset:64
	s_and_not1_b32 exec_lo, exec_lo, s46
	s_cbranch_execnz .LBB16_5
	s_branch .LBB16_2
.LBB16_6:
	s_nop 0
	s_sendmsg sendmsg(MSG_DEALLOC_VGPRS)
	s_endpgm
	.section	.rodata,"a",@progbits
	.p2align	6, 0x0
	.amdhsa_kernel _ZL10k_get_rowsILi32ELi2EXadL_ZL15dequantize_q4_1PKvliR15HIP_vector_typeIfLj2EEEEiEvS1_PKiPT2_llS2_IjLj3EEmmmmmmmmm
		.amdhsa_group_segment_fixed_size 0
		.amdhsa_private_segment_fixed_size 0
		.amdhsa_kernarg_size 384
		.amdhsa_user_sgpr_count 13
		.amdhsa_user_sgpr_dispatch_ptr 0
		.amdhsa_user_sgpr_queue_ptr 0
		.amdhsa_user_sgpr_kernarg_segment_ptr 1
		.amdhsa_user_sgpr_dispatch_id 0
		.amdhsa_user_sgpr_private_segment_size 0
		.amdhsa_wavefront_size32 1
		.amdhsa_uses_dynamic_stack 0
		.amdhsa_enable_private_segment 0
		.amdhsa_system_sgpr_workgroup_id_x 1
		.amdhsa_system_sgpr_workgroup_id_y 1
		.amdhsa_system_sgpr_workgroup_id_z 1
		.amdhsa_system_sgpr_workgroup_info 0
		.amdhsa_system_vgpr_workitem_id 0
		.amdhsa_next_free_vgpr 14
		.amdhsa_next_free_sgpr 55
		.amdhsa_reserve_vcc 1
		.amdhsa_float_round_mode_32 0
		.amdhsa_float_round_mode_16_64 0
		.amdhsa_float_denorm_mode_32 3
		.amdhsa_float_denorm_mode_16_64 3
		.amdhsa_dx10_clamp 1
		.amdhsa_ieee_mode 1
		.amdhsa_fp16_overflow 0
		.amdhsa_workgroup_processor_mode 1
		.amdhsa_memory_ordered 1
		.amdhsa_forward_progress 0
		.amdhsa_shared_vgpr_count 0
		.amdhsa_exception_fp_ieee_invalid_op 0
		.amdhsa_exception_fp_denorm_src 0
		.amdhsa_exception_fp_ieee_div_zero 0
		.amdhsa_exception_fp_ieee_overflow 0
		.amdhsa_exception_fp_ieee_underflow 0
		.amdhsa_exception_fp_ieee_inexact 0
		.amdhsa_exception_int_div_zero 0
	.end_amdhsa_kernel
	.section	.text._ZL10k_get_rowsILi32ELi2EXadL_ZL15dequantize_q4_1PKvliR15HIP_vector_typeIfLj2EEEEiEvS1_PKiPT2_llS2_IjLj3EEmmmmmmmmm,"axG",@progbits,_ZL10k_get_rowsILi32ELi2EXadL_ZL15dequantize_q4_1PKvliR15HIP_vector_typeIfLj2EEEEiEvS1_PKiPT2_llS2_IjLj3EEmmmmmmmmm,comdat
.Lfunc_end16:
	.size	_ZL10k_get_rowsILi32ELi2EXadL_ZL15dequantize_q4_1PKvliR15HIP_vector_typeIfLj2EEEEiEvS1_PKiPT2_llS2_IjLj3EEmmmmmmmmm, .Lfunc_end16-_ZL10k_get_rowsILi32ELi2EXadL_ZL15dequantize_q4_1PKvliR15HIP_vector_typeIfLj2EEEEiEvS1_PKiPT2_llS2_IjLj3EEmmmmmmmmm
                                        ; -- End function
	.section	.AMDGPU.csdata,"",@progbits
; Kernel info:
; codeLenInByte = 884
; NumSgprs: 57
; NumVgprs: 14
; ScratchSize: 0
; MemoryBound: 0
; FloatMode: 240
; IeeeMode: 1
; LDSByteSize: 0 bytes/workgroup (compile time only)
; SGPRBlocks: 7
; VGPRBlocks: 1
; NumSGPRsForWavesPerEU: 57
; NumVGPRsForWavesPerEU: 14
; Occupancy: 16
; WaveLimiterHint : 1
; COMPUTE_PGM_RSRC2:SCRATCH_EN: 0
; COMPUTE_PGM_RSRC2:USER_SGPR: 13
; COMPUTE_PGM_RSRC2:TRAP_HANDLER: 0
; COMPUTE_PGM_RSRC2:TGID_X_EN: 1
; COMPUTE_PGM_RSRC2:TGID_Y_EN: 1
; COMPUTE_PGM_RSRC2:TGID_Z_EN: 1
; COMPUTE_PGM_RSRC2:TIDIG_COMP_CNT: 0
	.section	.text._ZL10k_get_rowsILi32ELi2EXadL_ZL15dequantize_q5_0PKvliR15HIP_vector_typeIfLj2EEEEiEvS1_PKiPT2_llS2_IjLj3EEmmmmmmmmm,"axG",@progbits,_ZL10k_get_rowsILi32ELi2EXadL_ZL15dequantize_q5_0PKvliR15HIP_vector_typeIfLj2EEEEiEvS1_PKiPT2_llS2_IjLj3EEmmmmmmmmm,comdat
	.globl	_ZL10k_get_rowsILi32ELi2EXadL_ZL15dequantize_q5_0PKvliR15HIP_vector_typeIfLj2EEEEiEvS1_PKiPT2_llS2_IjLj3EEmmmmmmmmm ; -- Begin function _ZL10k_get_rowsILi32ELi2EXadL_ZL15dequantize_q5_0PKvliR15HIP_vector_typeIfLj2EEEEiEvS1_PKiPT2_llS2_IjLj3EEmmmmmmmmm
	.p2align	8
	.type	_ZL10k_get_rowsILi32ELi2EXadL_ZL15dequantize_q5_0PKvliR15HIP_vector_typeIfLj2EEEEiEvS1_PKiPT2_llS2_IjLj3EEmmmmmmmmm,@function
_ZL10k_get_rowsILi32ELi2EXadL_ZL15dequantize_q5_0PKvliR15HIP_vector_typeIfLj2EEEEiEvS1_PKiPT2_llS2_IjLj3EEmmmmmmmmm: ; @_ZL10k_get_rowsILi32ELi2EXadL_ZL15dequantize_q5_0PKvliR15HIP_vector_typeIfLj2EEEEiEvS1_PKiPT2_llS2_IjLj3EEmmmmmmmmm
; %bb.0:
	s_clause 0x1
	s_load_b128 s[4:7], s[0:1], 0x18
	s_load_b64 s[36:37], s[0:1], 0x2c
	s_mov_b32 s34, s15
	s_mov_b32 s35, 0
	s_waitcnt lgkmcnt(0)
	s_mul_i32 s2, s37, s7
	s_mul_hi_u32 s3, s37, s6
	s_mul_i32 s6, s37, s6
	s_add_i32 s7, s3, s2
	s_delay_alu instid0(SALU_CYCLE_1) | instskip(NEXT) | instid1(VALU_DEP_1)
	v_cmp_le_i64_e64 s2, s[6:7], s[34:35]
	s_and_b32 vcc_lo, exec_lo, s2
	s_cbranch_vccnz .LBB17_6
; %bb.1:
	s_clause 0x5
	s_load_b64 s[38:39], s[0:1], 0x88
	s_load_b512 s[16:31], s[0:1], 0x38
	s_load_b64 s[40:41], s[0:1], 0x78
	s_load_b128 s[8:11], s[0:1], 0x0
	s_load_b64 s[44:45], s[0:1], 0x10
	s_load_b32 s3, s[0:1], 0x28
	s_add_u32 s42, s0, 0x80
	s_addc_u32 s43, s1, 0
	s_ashr_i32 s1, s13, 31
	v_mov_b32_e32 v1, 0
	s_waitcnt lgkmcnt(0)
	s_and_b32 s33, s39, 0xffff
	s_mul_i32 s2, s13, s29
	s_mul_hi_u32 s12, s13, s28
	s_mul_i32 s15, s1, s28
	s_mul_i32 s39, s1, s16
	s_add_i32 s1, s12, s2
	s_mul_i32 s0, s13, s28
	s_add_i32 s1, s1, s15
	s_mul_i32 s14, s14, s33
	s_lshl_b64 s[0:1], s[0:1], 2
	s_mul_i32 s28, s13, s17
	s_mul_hi_u32 s29, s13, s16
	v_add_lshl_u32 v0, s14, v0, 1
	s_mul_i32 s12, s13, s16
	s_add_u32 s16, s10, s0
	s_addc_u32 s17, s11, s1
	s_add_i32 s1, s29, s28
	v_cmp_gt_i64_e64 s0, s[4:5], v[0:1]
	s_add_i32 s13, s1, s39
	v_lshlrev_b64 v[2:3], 27, v[0:1]
	s_lshl_b64 s[10:11], s[12:13], 2
	s_delay_alu instid0(SALU_CYCLE_1)
	s_add_u32 s28, s44, s10
	s_addc_u32 s29, s45, s11
	s_mov_b64 s[10:11], s[34:35]
	s_branch .LBB17_3
.LBB17_2:                               ;   in Loop: Header=BB17_3 Depth=1
	s_or_b32 exec_lo, exec_lo, s39
	s_add_u32 s10, s10, s38
	s_addc_u32 s11, s11, 0
	s_delay_alu instid0(SALU_CYCLE_1) | instskip(NEXT) | instid1(VALU_DEP_1)
	v_cmp_ge_i64_e64 s1, s[10:11], s[6:7]
	s_and_b32 vcc_lo, exec_lo, s1
	s_cbranch_vccnz .LBB17_6
.LBB17_3:                               ; =>This Loop Header: Depth=1
                                        ;     Child Loop BB17_5 Depth 2
	s_and_saveexec_b32 s39, s0
	s_cbranch_execz .LBB17_2
; %bb.4:                                ;   in Loop: Header=BB17_3 Depth=1
	s_mul_hi_u32 s1, s10, s3
	v_dual_mov_b32 v5, v3 :: v_dual_mov_b32 v4, v2
	s_add_i32 s1, s1, s10
	v_dual_mov_b32 v7, v1 :: v_dual_mov_b32 v6, v0
	s_lshr_b32 s1, s1, s36
	s_delay_alu instid0(SALU_CYCLE_1)
	s_mul_i32 s2, s1, s37
	s_mul_i32 s12, s1, s31
	s_mul_hi_u32 s13, s1, s30
	s_ashr_i32 s34, s1, 31
	s_add_i32 s12, s13, s12
	s_mul_i32 s13, s34, s30
	s_sub_i32 s2, s10, s2
	s_add_i32 s13, s12, s13
	s_mul_i32 s12, s2, s41
	s_mul_hi_u32 s14, s2, s40
	s_ashr_i32 s46, s2, 31
	s_add_i32 s14, s14, s12
	s_mul_i32 s12, s1, s30
	s_mul_i32 s15, s46, s40
	s_lshl_b64 s[12:13], s[12:13], 2
	s_add_i32 s15, s14, s15
	s_mul_i32 s14, s2, s40
	s_add_u32 s44, s16, s12
	s_addc_u32 s45, s17, s13
	s_lshl_b64 s[12:13], s[14:15], 2
	s_mul_hi_u32 s14, s1, s18
	s_add_u32 s12, s44, s12
	s_addc_u32 s13, s45, s13
	s_load_b32 s47, s[12:13], 0x0
	s_load_b32 s48, s[42:43], 0x4
	s_mul_i32 s13, s1, s19
	s_mul_i32 s15, s34, s18
	s_add_i32 s13, s14, s13
	s_mul_i32 s12, s1, s18
	s_add_i32 s13, s13, s15
	s_mul_i32 s44, s2, s21
	s_lshl_b64 s[12:13], s[12:13], 2
	s_mul_hi_u32 s45, s2, s20
	s_mul_i32 s15, s46, s20
	s_mul_i32 s14, s2, s20
	;; [unrolled: 1-line block ×5, first 2 shown]
	s_waitcnt lgkmcnt(0)
	s_ashr_i32 s50, s47, 31
	s_add_u32 s51, s28, s12
	s_addc_u32 s52, s29, s13
	s_add_i32 s12, s45, s44
	s_mul_i32 s53, s47, s23
	s_add_i32 s15, s12, s15
	s_mul_hi_u32 s54, s47, s22
	s_lshl_b64 s[12:13], s[14:15], 2
	s_mul_i32 s50, s50, s22
	s_add_u32 s44, s51, s12
	s_addc_u32 s45, s52, s13
	s_add_i32 s12, s54, s53
	s_mul_i32 s47, s47, s22
	s_add_i32 s12, s12, s50
	s_mul_hi_u32 s14, s1, s24
	s_add_u32 s13, s8, s47
	s_addc_u32 s12, s9, s12
	s_add_i32 s14, s14, s49
	s_mul_i32 s1, s1, s24
	s_add_i32 s14, s14, s34
	s_add_u32 s1, s13, s1
	s_mul_i32 s13, s2, s27
	s_mul_hi_u32 s15, s2, s26
	s_addc_u32 s14, s12, s14
	s_add_i32 s12, s15, s13
	s_mul_i32 s2, s2, s26
	s_add_i32 s13, s12, s46
	s_mul_i32 s34, s48, s33
	s_add_u32 s12, s1, s2
	s_addc_u32 s13, s14, s13
	s_lshl_b64 s[14:15], s[34:35], 27
	s_mov_b32 s46, 0
.LBB17_5:                               ;   Parent Loop BB17_3 Depth=1
                                        ; =>  This Inner Loop Header: Depth=2
	v_mad_i64_i32 v[8:9], null, v5, 22, s[12:13]
	v_bfe_u32 v10, v6, 1, 4
	s_clause 0x1
	global_load_b32 v11, v[8:9], off
	global_load_u16 v12, v[8:9], off offset:4
	v_add_co_u32 v8, vcc_lo, v8, v10
	v_add_co_ci_u32_e32 v9, vcc_lo, 0, v9, vcc_lo
	v_add_nc_u32_e32 v13, 12, v10
	v_add_co_u32 v4, vcc_lo, v4, s14
	global_load_u8 v9, v[8:9], off offset:6
	v_and_or_b32 v8, 0xffffffe0, v6, v10
	v_add_co_u32 v6, s1, v6, s34
	s_delay_alu instid0(VALU_DEP_1) | instskip(SKIP_1) | instid1(VALU_DEP_2)
	v_add_co_ci_u32_e64 v7, s1, 0, v7, s1
	v_add_co_ci_u32_e32 v5, vcc_lo, s15, v5, vcc_lo
	v_cmp_le_i64_e64 s1, s[4:5], v[6:7]
	s_delay_alu instid0(VALU_DEP_1) | instskip(SKIP_3) | instid1(VALU_DEP_2)
	s_or_b32 s46, s1, s46
	s_waitcnt vmcnt(1)
	v_perm_b32 v12, v11, v12, 0x1000706
	v_cvt_f32_f16_e32 v11, v11
	v_lshrrev_b32_e32 v10, v10, v12
	v_lshrrev_b32_e32 v12, v13, v12
	s_waitcnt vmcnt(0)
	v_lshrrev_b16 v14, 4, v9
	s_delay_alu instid0(VALU_DEP_2) | instskip(NEXT) | instid1(VALU_DEP_2)
	v_and_b32_e32 v12, 16, v12
	v_or_b32_e32 v13, -16, v14
	v_or_b32_e32 v14, -16, v9
	v_ashrrev_i32_e32 v9, 31, v8
	s_delay_alu instid0(VALU_DEP_3) | instskip(NEXT) | instid1(VALU_DEP_2)
	v_bfe_i32 v13, v13, 0, 16
	v_lshlrev_b64 v[8:9], 2, v[8:9]
	s_delay_alu instid0(VALU_DEP_2) | instskip(NEXT) | instid1(VALU_DEP_2)
	v_add_nc_u32_e32 v12, v12, v13
	v_add_co_u32 v8, s2, s44, v8
	s_delay_alu instid0(VALU_DEP_2) | instskip(SKIP_2) | instid1(VALU_DEP_2)
	v_cvt_f32_i32_e32 v12, v12
	v_lshlrev_b32_e32 v10, 4, v10
	v_add_co_ci_u32_e64 v9, s2, s45, v9, s2
	v_and_b32_e32 v10, 16, v10
	s_delay_alu instid0(VALU_DEP_1) | instskip(NEXT) | instid1(VALU_DEP_1)
	v_add_nc_u32_e32 v10, v14, v10
	v_cvt_f32_i32_e32 v10, v10
	s_delay_alu instid0(VALU_DEP_1) | instskip(SKIP_1) | instid1(VALU_DEP_2)
	v_mul_f32_e32 v10, v11, v10
	v_mul_f32_e32 v11, v11, v12
	v_cvt_i32_f32_e32 v10, v10
	s_delay_alu instid0(VALU_DEP_2)
	v_cvt_i32_f32_e32 v11, v11
	s_clause 0x1
	global_store_b32 v[8:9], v10, off
	global_store_b32 v[8:9], v11, off offset:64
	s_and_not1_b32 exec_lo, exec_lo, s46
	s_cbranch_execnz .LBB17_5
	s_branch .LBB17_2
.LBB17_6:
	s_nop 0
	s_sendmsg sendmsg(MSG_DEALLOC_VGPRS)
	s_endpgm
	.section	.rodata,"a",@progbits
	.p2align	6, 0x0
	.amdhsa_kernel _ZL10k_get_rowsILi32ELi2EXadL_ZL15dequantize_q5_0PKvliR15HIP_vector_typeIfLj2EEEEiEvS1_PKiPT2_llS2_IjLj3EEmmmmmmmmm
		.amdhsa_group_segment_fixed_size 0
		.amdhsa_private_segment_fixed_size 0
		.amdhsa_kernarg_size 384
		.amdhsa_user_sgpr_count 13
		.amdhsa_user_sgpr_dispatch_ptr 0
		.amdhsa_user_sgpr_queue_ptr 0
		.amdhsa_user_sgpr_kernarg_segment_ptr 1
		.amdhsa_user_sgpr_dispatch_id 0
		.amdhsa_user_sgpr_private_segment_size 0
		.amdhsa_wavefront_size32 1
		.amdhsa_uses_dynamic_stack 0
		.amdhsa_enable_private_segment 0
		.amdhsa_system_sgpr_workgroup_id_x 1
		.amdhsa_system_sgpr_workgroup_id_y 1
		.amdhsa_system_sgpr_workgroup_id_z 1
		.amdhsa_system_sgpr_workgroup_info 0
		.amdhsa_system_vgpr_workitem_id 0
		.amdhsa_next_free_vgpr 15
		.amdhsa_next_free_sgpr 55
		.amdhsa_reserve_vcc 1
		.amdhsa_float_round_mode_32 0
		.amdhsa_float_round_mode_16_64 0
		.amdhsa_float_denorm_mode_32 3
		.amdhsa_float_denorm_mode_16_64 3
		.amdhsa_dx10_clamp 1
		.amdhsa_ieee_mode 1
		.amdhsa_fp16_overflow 0
		.amdhsa_workgroup_processor_mode 1
		.amdhsa_memory_ordered 1
		.amdhsa_forward_progress 0
		.amdhsa_shared_vgpr_count 0
		.amdhsa_exception_fp_ieee_invalid_op 0
		.amdhsa_exception_fp_denorm_src 0
		.amdhsa_exception_fp_ieee_div_zero 0
		.amdhsa_exception_fp_ieee_overflow 0
		.amdhsa_exception_fp_ieee_underflow 0
		.amdhsa_exception_fp_ieee_inexact 0
		.amdhsa_exception_int_div_zero 0
	.end_amdhsa_kernel
	.section	.text._ZL10k_get_rowsILi32ELi2EXadL_ZL15dequantize_q5_0PKvliR15HIP_vector_typeIfLj2EEEEiEvS1_PKiPT2_llS2_IjLj3EEmmmmmmmmm,"axG",@progbits,_ZL10k_get_rowsILi32ELi2EXadL_ZL15dequantize_q5_0PKvliR15HIP_vector_typeIfLj2EEEEiEvS1_PKiPT2_llS2_IjLj3EEmmmmmmmmm,comdat
.Lfunc_end17:
	.size	_ZL10k_get_rowsILi32ELi2EXadL_ZL15dequantize_q5_0PKvliR15HIP_vector_typeIfLj2EEEEiEvS1_PKiPT2_llS2_IjLj3EEmmmmmmmmm, .Lfunc_end17-_ZL10k_get_rowsILi32ELi2EXadL_ZL15dequantize_q5_0PKvliR15HIP_vector_typeIfLj2EEEEiEvS1_PKiPT2_llS2_IjLj3EEmmmmmmmmm
                                        ; -- End function
	.section	.AMDGPU.csdata,"",@progbits
; Kernel info:
; codeLenInByte = 948
; NumSgprs: 57
; NumVgprs: 15
; ScratchSize: 0
; MemoryBound: 0
; FloatMode: 240
; IeeeMode: 1
; LDSByteSize: 0 bytes/workgroup (compile time only)
; SGPRBlocks: 7
; VGPRBlocks: 1
; NumSGPRsForWavesPerEU: 57
; NumVGPRsForWavesPerEU: 15
; Occupancy: 16
; WaveLimiterHint : 1
; COMPUTE_PGM_RSRC2:SCRATCH_EN: 0
; COMPUTE_PGM_RSRC2:USER_SGPR: 13
; COMPUTE_PGM_RSRC2:TRAP_HANDLER: 0
; COMPUTE_PGM_RSRC2:TGID_X_EN: 1
; COMPUTE_PGM_RSRC2:TGID_Y_EN: 1
; COMPUTE_PGM_RSRC2:TGID_Z_EN: 1
; COMPUTE_PGM_RSRC2:TIDIG_COMP_CNT: 0
	.section	.text._ZL10k_get_rowsILi32ELi2EXadL_ZL15dequantize_q5_1PKvliR15HIP_vector_typeIfLj2EEEEiEvS1_PKiPT2_llS2_IjLj3EEmmmmmmmmm,"axG",@progbits,_ZL10k_get_rowsILi32ELi2EXadL_ZL15dequantize_q5_1PKvliR15HIP_vector_typeIfLj2EEEEiEvS1_PKiPT2_llS2_IjLj3EEmmmmmmmmm,comdat
	.globl	_ZL10k_get_rowsILi32ELi2EXadL_ZL15dequantize_q5_1PKvliR15HIP_vector_typeIfLj2EEEEiEvS1_PKiPT2_llS2_IjLj3EEmmmmmmmmm ; -- Begin function _ZL10k_get_rowsILi32ELi2EXadL_ZL15dequantize_q5_1PKvliR15HIP_vector_typeIfLj2EEEEiEvS1_PKiPT2_llS2_IjLj3EEmmmmmmmmm
	.p2align	8
	.type	_ZL10k_get_rowsILi32ELi2EXadL_ZL15dequantize_q5_1PKvliR15HIP_vector_typeIfLj2EEEEiEvS1_PKiPT2_llS2_IjLj3EEmmmmmmmmm,@function
_ZL10k_get_rowsILi32ELi2EXadL_ZL15dequantize_q5_1PKvliR15HIP_vector_typeIfLj2EEEEiEvS1_PKiPT2_llS2_IjLj3EEmmmmmmmmm: ; @_ZL10k_get_rowsILi32ELi2EXadL_ZL15dequantize_q5_1PKvliR15HIP_vector_typeIfLj2EEEEiEvS1_PKiPT2_llS2_IjLj3EEmmmmmmmmm
; %bb.0:
	s_clause 0x1
	s_load_b128 s[4:7], s[0:1], 0x18
	s_load_b64 s[36:37], s[0:1], 0x2c
	s_mov_b32 s34, s15
	s_mov_b32 s35, 0
	s_waitcnt lgkmcnt(0)
	s_mul_i32 s2, s37, s7
	s_mul_hi_u32 s3, s37, s6
	s_mul_i32 s6, s37, s6
	s_add_i32 s7, s3, s2
	s_delay_alu instid0(SALU_CYCLE_1) | instskip(NEXT) | instid1(VALU_DEP_1)
	v_cmp_le_i64_e64 s2, s[6:7], s[34:35]
	s_and_b32 vcc_lo, exec_lo, s2
	s_cbranch_vccnz .LBB18_6
; %bb.1:
	s_clause 0x5
	s_load_b64 s[38:39], s[0:1], 0x88
	s_load_b512 s[16:31], s[0:1], 0x38
	s_load_b64 s[40:41], s[0:1], 0x78
	s_load_b128 s[8:11], s[0:1], 0x0
	s_load_b64 s[44:45], s[0:1], 0x10
	s_load_b32 s3, s[0:1], 0x28
	s_add_u32 s42, s0, 0x80
	s_addc_u32 s43, s1, 0
	s_ashr_i32 s1, s13, 31
	v_mov_b32_e32 v1, 0
	s_waitcnt lgkmcnt(0)
	s_and_b32 s33, s39, 0xffff
	s_mul_i32 s2, s13, s29
	s_mul_hi_u32 s12, s13, s28
	s_mul_i32 s15, s1, s28
	s_mul_i32 s39, s1, s16
	s_add_i32 s1, s12, s2
	s_mul_i32 s0, s13, s28
	s_add_i32 s1, s1, s15
	s_mul_i32 s14, s14, s33
	s_lshl_b64 s[0:1], s[0:1], 2
	s_mul_i32 s28, s13, s17
	s_mul_hi_u32 s29, s13, s16
	v_add_lshl_u32 v0, s14, v0, 1
	s_mul_i32 s12, s13, s16
	s_add_u32 s16, s10, s0
	s_addc_u32 s17, s11, s1
	s_add_i32 s1, s29, s28
	v_cmp_gt_i64_e64 s0, s[4:5], v[0:1]
	s_add_i32 s13, s1, s39
	v_lshlrev_b64 v[2:3], 27, v[0:1]
	s_lshl_b64 s[10:11], s[12:13], 2
	s_delay_alu instid0(SALU_CYCLE_1)
	s_add_u32 s28, s44, s10
	s_addc_u32 s29, s45, s11
	s_mov_b64 s[10:11], s[34:35]
	s_branch .LBB18_3
.LBB18_2:                               ;   in Loop: Header=BB18_3 Depth=1
	s_or_b32 exec_lo, exec_lo, s39
	s_add_u32 s10, s10, s38
	s_addc_u32 s11, s11, 0
	s_delay_alu instid0(SALU_CYCLE_1) | instskip(NEXT) | instid1(VALU_DEP_1)
	v_cmp_ge_i64_e64 s1, s[10:11], s[6:7]
	s_and_b32 vcc_lo, exec_lo, s1
	s_cbranch_vccnz .LBB18_6
.LBB18_3:                               ; =>This Loop Header: Depth=1
                                        ;     Child Loop BB18_5 Depth 2
	s_and_saveexec_b32 s39, s0
	s_cbranch_execz .LBB18_2
; %bb.4:                                ;   in Loop: Header=BB18_3 Depth=1
	s_mul_hi_u32 s1, s10, s3
	v_dual_mov_b32 v5, v3 :: v_dual_mov_b32 v4, v2
	s_add_i32 s1, s1, s10
	v_dual_mov_b32 v7, v1 :: v_dual_mov_b32 v6, v0
	s_lshr_b32 s1, s1, s36
	s_delay_alu instid0(SALU_CYCLE_1)
	s_mul_i32 s2, s1, s37
	s_mul_i32 s12, s1, s31
	s_mul_hi_u32 s13, s1, s30
	s_ashr_i32 s34, s1, 31
	s_add_i32 s12, s13, s12
	s_mul_i32 s13, s34, s30
	s_sub_i32 s2, s10, s2
	s_add_i32 s13, s12, s13
	s_mul_i32 s12, s2, s41
	s_mul_hi_u32 s14, s2, s40
	s_ashr_i32 s46, s2, 31
	s_add_i32 s14, s14, s12
	s_mul_i32 s12, s1, s30
	s_mul_i32 s15, s46, s40
	s_lshl_b64 s[12:13], s[12:13], 2
	s_add_i32 s15, s14, s15
	s_mul_i32 s14, s2, s40
	s_add_u32 s44, s16, s12
	s_addc_u32 s45, s17, s13
	s_lshl_b64 s[12:13], s[14:15], 2
	s_mul_hi_u32 s14, s1, s18
	s_add_u32 s12, s44, s12
	s_addc_u32 s13, s45, s13
	s_load_b32 s47, s[12:13], 0x0
	s_load_b32 s48, s[42:43], 0x4
	s_mul_i32 s13, s1, s19
	s_mul_i32 s15, s34, s18
	s_add_i32 s13, s14, s13
	s_mul_i32 s12, s1, s18
	s_add_i32 s13, s13, s15
	s_mul_i32 s44, s2, s21
	s_lshl_b64 s[12:13], s[12:13], 2
	s_mul_hi_u32 s45, s2, s20
	s_mul_i32 s15, s46, s20
	s_mul_i32 s14, s2, s20
	;; [unrolled: 1-line block ×5, first 2 shown]
	s_waitcnt lgkmcnt(0)
	s_ashr_i32 s50, s47, 31
	s_add_u32 s51, s28, s12
	s_addc_u32 s52, s29, s13
	s_add_i32 s12, s45, s44
	s_mul_i32 s53, s47, s23
	s_add_i32 s15, s12, s15
	s_mul_hi_u32 s54, s47, s22
	s_lshl_b64 s[12:13], s[14:15], 2
	s_mul_i32 s50, s50, s22
	s_add_u32 s44, s51, s12
	s_addc_u32 s45, s52, s13
	s_add_i32 s12, s54, s53
	s_mul_i32 s47, s47, s22
	s_add_i32 s12, s12, s50
	s_mul_hi_u32 s14, s1, s24
	s_add_u32 s13, s8, s47
	s_addc_u32 s12, s9, s12
	s_add_i32 s14, s14, s49
	s_mul_i32 s1, s1, s24
	s_add_i32 s14, s14, s34
	s_add_u32 s1, s13, s1
	s_mul_i32 s13, s2, s27
	s_mul_hi_u32 s15, s2, s26
	s_addc_u32 s14, s12, s14
	s_add_i32 s12, s15, s13
	s_mul_i32 s2, s2, s26
	s_add_i32 s13, s12, s46
	s_mul_i32 s34, s48, s33
	s_add_u32 s12, s1, s2
	s_addc_u32 s13, s14, s13
	s_lshl_b64 s[14:15], s[34:35], 27
	s_mov_b32 s46, 0
.LBB18_5:                               ;   Parent Loop BB18_3 Depth=1
                                        ; =>  This Inner Loop Header: Depth=2
	v_mad_i64_i32 v[8:9], null, v5, 24, s[12:13]
	v_bfe_u32 v13, v6, 1, 4
	s_clause 0x2
	global_load_u16 v10, v[8:9], off offset:6
	global_load_b32 v11, v[8:9], off
	global_load_u16 v12, v[8:9], off offset:4
	v_add_co_u32 v8, vcc_lo, v8, v13
	v_add_co_ci_u32_e32 v9, vcc_lo, 0, v9, vcc_lo
	v_add_nc_u32_e32 v15, 12, v13
	v_add_co_u32 v4, vcc_lo, v4, s14
	global_load_u8 v9, v[8:9], off offset:8
	v_add_co_ci_u32_e32 v5, vcc_lo, s15, v5, vcc_lo
	s_waitcnt vmcnt(3)
	v_lshrrev_b16 v8, 8, v10
	v_and_b32_e32 v10, 0xff, v10
	s_delay_alu instid0(VALU_DEP_2) | instskip(NEXT) | instid1(VALU_DEP_2)
	v_lshlrev_b32_e32 v14, 24, v8
	v_lshlrev_b32_e32 v10, 16, v10
	v_and_or_b32 v8, 0xffffffe0, v6, v13
	v_add_co_u32 v6, s1, v6, s34
	s_delay_alu instid0(VALU_DEP_1)
	v_add_co_ci_u32_e64 v7, s1, 0, v7, s1
	s_waitcnt vmcnt(1)
	v_or3_b32 v10, v10, v12, v14
	s_waitcnt vmcnt(0)
	v_lshrrev_b16 v14, 4, v9
	v_cmp_le_i64_e64 s1, s[4:5], v[6:7]
	s_delay_alu instid0(VALU_DEP_3)
	v_lshrrev_b32_e32 v12, v13, v10
	v_and_b32_e32 v13, 15, v9
	v_lshrrev_b32_e32 v10, v15, v10
	v_ashrrev_i32_e32 v9, 31, v8
	s_or_b32 s46, s1, s46
	v_lshlrev_b32_e32 v12, 4, v12
	s_delay_alu instid0(VALU_DEP_3) | instskip(NEXT) | instid1(VALU_DEP_3)
	v_and_or_b32 v10, v10, 16, v14
	v_lshlrev_b64 v[8:9], 2, v[8:9]
	s_delay_alu instid0(VALU_DEP_3) | instskip(NEXT) | instid1(VALU_DEP_3)
	v_and_or_b32 v12, v12, 16, v13
	v_cvt_f32_ubyte0_e32 v10, v10
	s_delay_alu instid0(VALU_DEP_3) | instskip(NEXT) | instid1(VALU_DEP_3)
	v_add_co_u32 v8, s2, s44, v8
	v_cvt_f32_ubyte0_e32 v12, v12
	s_delay_alu instid0(VALU_DEP_3) | instskip(SKIP_1) | instid1(VALU_DEP_3)
	v_fma_mix_f32 v10, v11, v10, v11 op_sel:[0,0,1] op_sel_hi:[1,0,1]
	v_add_co_ci_u32_e64 v9, s2, s45, v9, s2
	v_fma_mix_f32 v11, v11, v12, v11 op_sel:[0,0,1] op_sel_hi:[1,0,1]
	s_delay_alu instid0(VALU_DEP_3) | instskip(NEXT) | instid1(VALU_DEP_2)
	v_cvt_i32_f32_e32 v10, v10
	v_cvt_i32_f32_e32 v11, v11
	s_clause 0x1
	global_store_b32 v[8:9], v11, off
	global_store_b32 v[8:9], v10, off offset:64
	s_and_not1_b32 exec_lo, exec_lo, s46
	s_cbranch_execnz .LBB18_5
	s_branch .LBB18_2
.LBB18_6:
	s_nop 0
	s_sendmsg sendmsg(MSG_DEALLOC_VGPRS)
	s_endpgm
	.section	.rodata,"a",@progbits
	.p2align	6, 0x0
	.amdhsa_kernel _ZL10k_get_rowsILi32ELi2EXadL_ZL15dequantize_q5_1PKvliR15HIP_vector_typeIfLj2EEEEiEvS1_PKiPT2_llS2_IjLj3EEmmmmmmmmm
		.amdhsa_group_segment_fixed_size 0
		.amdhsa_private_segment_fixed_size 0
		.amdhsa_kernarg_size 384
		.amdhsa_user_sgpr_count 13
		.amdhsa_user_sgpr_dispatch_ptr 0
		.amdhsa_user_sgpr_queue_ptr 0
		.amdhsa_user_sgpr_kernarg_segment_ptr 1
		.amdhsa_user_sgpr_dispatch_id 0
		.amdhsa_user_sgpr_private_segment_size 0
		.amdhsa_wavefront_size32 1
		.amdhsa_uses_dynamic_stack 0
		.amdhsa_enable_private_segment 0
		.amdhsa_system_sgpr_workgroup_id_x 1
		.amdhsa_system_sgpr_workgroup_id_y 1
		.amdhsa_system_sgpr_workgroup_id_z 1
		.amdhsa_system_sgpr_workgroup_info 0
		.amdhsa_system_vgpr_workitem_id 0
		.amdhsa_next_free_vgpr 16
		.amdhsa_next_free_sgpr 55
		.amdhsa_reserve_vcc 1
		.amdhsa_float_round_mode_32 0
		.amdhsa_float_round_mode_16_64 0
		.amdhsa_float_denorm_mode_32 3
		.amdhsa_float_denorm_mode_16_64 3
		.amdhsa_dx10_clamp 1
		.amdhsa_ieee_mode 1
		.amdhsa_fp16_overflow 0
		.amdhsa_workgroup_processor_mode 1
		.amdhsa_memory_ordered 1
		.amdhsa_forward_progress 0
		.amdhsa_shared_vgpr_count 0
		.amdhsa_exception_fp_ieee_invalid_op 0
		.amdhsa_exception_fp_denorm_src 0
		.amdhsa_exception_fp_ieee_div_zero 0
		.amdhsa_exception_fp_ieee_overflow 0
		.amdhsa_exception_fp_ieee_underflow 0
		.amdhsa_exception_fp_ieee_inexact 0
		.amdhsa_exception_int_div_zero 0
	.end_amdhsa_kernel
	.section	.text._ZL10k_get_rowsILi32ELi2EXadL_ZL15dequantize_q5_1PKvliR15HIP_vector_typeIfLj2EEEEiEvS1_PKiPT2_llS2_IjLj3EEmmmmmmmmm,"axG",@progbits,_ZL10k_get_rowsILi32ELi2EXadL_ZL15dequantize_q5_1PKvliR15HIP_vector_typeIfLj2EEEEiEvS1_PKiPT2_llS2_IjLj3EEmmmmmmmmm,comdat
.Lfunc_end18:
	.size	_ZL10k_get_rowsILi32ELi2EXadL_ZL15dequantize_q5_1PKvliR15HIP_vector_typeIfLj2EEEEiEvS1_PKiPT2_llS2_IjLj3EEmmmmmmmmm, .Lfunc_end18-_ZL10k_get_rowsILi32ELi2EXadL_ZL15dequantize_q5_1PKvliR15HIP_vector_typeIfLj2EEEEiEvS1_PKiPT2_llS2_IjLj3EEmmmmmmmmm
                                        ; -- End function
	.section	.AMDGPU.csdata,"",@progbits
; Kernel info:
; codeLenInByte = 968
; NumSgprs: 57
; NumVgprs: 16
; ScratchSize: 0
; MemoryBound: 0
; FloatMode: 240
; IeeeMode: 1
; LDSByteSize: 0 bytes/workgroup (compile time only)
; SGPRBlocks: 7
; VGPRBlocks: 1
; NumSGPRsForWavesPerEU: 57
; NumVGPRsForWavesPerEU: 16
; Occupancy: 16
; WaveLimiterHint : 1
; COMPUTE_PGM_RSRC2:SCRATCH_EN: 0
; COMPUTE_PGM_RSRC2:USER_SGPR: 13
; COMPUTE_PGM_RSRC2:TRAP_HANDLER: 0
; COMPUTE_PGM_RSRC2:TGID_X_EN: 1
; COMPUTE_PGM_RSRC2:TGID_Y_EN: 1
; COMPUTE_PGM_RSRC2:TGID_Z_EN: 1
; COMPUTE_PGM_RSRC2:TIDIG_COMP_CNT: 0
	.section	.text._ZL10k_get_rowsILi32ELi1EXadL_ZL15dequantize_q8_0PKvliR15HIP_vector_typeIfLj2EEEEiEvS1_PKiPT2_llS2_IjLj3EEmmmmmmmmm,"axG",@progbits,_ZL10k_get_rowsILi32ELi1EXadL_ZL15dequantize_q8_0PKvliR15HIP_vector_typeIfLj2EEEEiEvS1_PKiPT2_llS2_IjLj3EEmmmmmmmmm,comdat
	.globl	_ZL10k_get_rowsILi32ELi1EXadL_ZL15dequantize_q8_0PKvliR15HIP_vector_typeIfLj2EEEEiEvS1_PKiPT2_llS2_IjLj3EEmmmmmmmmm ; -- Begin function _ZL10k_get_rowsILi32ELi1EXadL_ZL15dequantize_q8_0PKvliR15HIP_vector_typeIfLj2EEEEiEvS1_PKiPT2_llS2_IjLj3EEmmmmmmmmm
	.p2align	8
	.type	_ZL10k_get_rowsILi32ELi1EXadL_ZL15dequantize_q8_0PKvliR15HIP_vector_typeIfLj2EEEEiEvS1_PKiPT2_llS2_IjLj3EEmmmmmmmmm,@function
_ZL10k_get_rowsILi32ELi1EXadL_ZL15dequantize_q8_0PKvliR15HIP_vector_typeIfLj2EEEEiEvS1_PKiPT2_llS2_IjLj3EEmmmmmmmmm: ; @_ZL10k_get_rowsILi32ELi1EXadL_ZL15dequantize_q8_0PKvliR15HIP_vector_typeIfLj2EEEEiEvS1_PKiPT2_llS2_IjLj3EEmmmmmmmmm
; %bb.0:
	s_clause 0x1
	s_load_b128 s[4:7], s[0:1], 0x18
	s_load_b64 s[36:37], s[0:1], 0x2c
	s_mov_b32 s34, s15
	s_mov_b32 s35, 0
	s_waitcnt lgkmcnt(0)
	s_mul_i32 s2, s37, s7
	s_mul_hi_u32 s3, s37, s6
	s_mul_i32 s6, s37, s6
	s_add_i32 s7, s3, s2
	s_delay_alu instid0(SALU_CYCLE_1) | instskip(NEXT) | instid1(VALU_DEP_1)
	v_cmp_le_i64_e64 s2, s[6:7], s[34:35]
	s_and_b32 vcc_lo, exec_lo, s2
	s_cbranch_vccnz .LBB19_6
; %bb.1:
	s_clause 0x5
	s_load_b64 s[38:39], s[0:1], 0x88
	s_load_b512 s[16:31], s[0:1], 0x38
	s_load_b64 s[40:41], s[0:1], 0x78
	s_load_b128 s[8:11], s[0:1], 0x0
	s_load_b64 s[44:45], s[0:1], 0x10
	s_load_b32 s3, s[0:1], 0x28
	s_add_u32 s42, s0, 0x80
	s_addc_u32 s43, s1, 0
	s_ashr_i32 s1, s13, 31
	v_mov_b32_e32 v1, 0
	s_waitcnt lgkmcnt(0)
	s_and_b32 s33, s39, 0xffff
	s_mul_i32 s2, s13, s29
	s_mul_hi_u32 s12, s13, s28
	s_mul_i32 s15, s1, s28
	s_mul_i32 s39, s1, s16
	s_add_i32 s1, s12, s2
	s_mul_i32 s0, s13, s28
	s_add_i32 s1, s1, s15
	s_mul_i32 s14, s14, s33
	s_lshl_b64 s[0:1], s[0:1], 2
	s_mul_i32 s28, s13, s17
	s_mul_hi_u32 s29, s13, s16
	v_add_lshl_u32 v0, s14, v0, 1
	s_mul_i32 s12, s13, s16
	s_add_u32 s16, s10, s0
	s_addc_u32 s17, s11, s1
	s_add_i32 s1, s29, s28
	v_cmp_gt_i64_e64 s0, s[4:5], v[0:1]
	s_add_i32 s13, s1, s39
	v_lshlrev_b64 v[4:5], 27, v[0:1]
	v_dual_mov_b32 v2, v1 :: v_dual_mov_b32 v3, v0
	s_lshl_b64 s[10:11], s[12:13], 2
	s_delay_alu instid0(SALU_CYCLE_1)
	s_add_u32 s28, s44, s10
	s_addc_u32 s29, s45, s11
	s_mov_b64 s[10:11], s[34:35]
	s_branch .LBB19_3
.LBB19_2:                               ;   in Loop: Header=BB19_3 Depth=1
	s_set_inst_prefetch_distance 0x2
	s_or_b32 exec_lo, exec_lo, s39
	s_add_u32 s10, s10, s38
	s_addc_u32 s11, s11, 0
	s_delay_alu instid0(SALU_CYCLE_1) | instskip(NEXT) | instid1(VALU_DEP_1)
	v_cmp_ge_i64_e64 s1, s[10:11], s[6:7]
	s_and_b32 vcc_lo, exec_lo, s1
	s_cbranch_vccnz .LBB19_6
.LBB19_3:                               ; =>This Loop Header: Depth=1
                                        ;     Child Loop BB19_5 Depth 2
	s_and_saveexec_b32 s39, s0
	s_cbranch_execz .LBB19_2
; %bb.4:                                ;   in Loop: Header=BB19_3 Depth=1
	s_mul_hi_u32 s1, s10, s3
	v_dual_mov_b32 v7, v3 :: v_dual_mov_b32 v6, v2
	s_add_i32 s1, s1, s10
	v_dual_mov_b32 v9, v5 :: v_dual_mov_b32 v8, v4
	s_lshr_b32 s1, s1, s36
	v_dual_mov_b32 v11, v1 :: v_dual_mov_b32 v10, v0
	s_mul_i32 s2, s1, s37
	s_mul_i32 s12, s1, s31
	s_mul_hi_u32 s13, s1, s30
	s_ashr_i32 s34, s1, 31
	s_add_i32 s12, s13, s12
	s_mul_i32 s13, s34, s30
	s_sub_i32 s2, s10, s2
	s_add_i32 s13, s12, s13
	s_mul_i32 s12, s2, s41
	s_mul_hi_u32 s14, s2, s40
	s_ashr_i32 s46, s2, 31
	s_add_i32 s14, s14, s12
	s_mul_i32 s12, s1, s30
	s_mul_i32 s15, s46, s40
	s_lshl_b64 s[12:13], s[12:13], 2
	s_add_i32 s15, s14, s15
	s_mul_i32 s14, s2, s40
	s_add_u32 s44, s16, s12
	s_addc_u32 s45, s17, s13
	s_lshl_b64 s[12:13], s[14:15], 2
	s_mul_hi_u32 s14, s1, s18
	s_add_u32 s12, s44, s12
	s_addc_u32 s13, s45, s13
	s_load_b32 s47, s[12:13], 0x0
	s_load_b32 s48, s[42:43], 0x4
	s_mul_i32 s13, s1, s19
	s_mul_i32 s15, s34, s18
	s_add_i32 s13, s14, s13
	s_mul_i32 s12, s1, s18
	s_add_i32 s13, s13, s15
	s_mul_i32 s44, s2, s21
	s_lshl_b64 s[12:13], s[12:13], 2
	s_mul_hi_u32 s45, s2, s20
	s_mul_i32 s15, s46, s20
	s_mul_i32 s14, s2, s20
	;; [unrolled: 1-line block ×5, first 2 shown]
	s_waitcnt lgkmcnt(0)
	s_ashr_i32 s50, s47, 31
	s_add_u32 s51, s28, s12
	s_addc_u32 s52, s29, s13
	s_add_i32 s12, s45, s44
	s_mul_i32 s53, s47, s23
	s_add_i32 s15, s12, s15
	s_mul_hi_u32 s54, s47, s22
	s_lshl_b64 s[12:13], s[14:15], 2
	s_mul_i32 s50, s50, s22
	s_add_u32 s44, s51, s12
	s_addc_u32 s45, s52, s13
	s_add_i32 s12, s54, s53
	s_mul_i32 s47, s47, s22
	s_add_i32 s12, s12, s50
	s_mul_hi_u32 s14, s1, s24
	s_add_u32 s13, s8, s47
	s_addc_u32 s12, s9, s12
	s_add_i32 s14, s14, s49
	s_mul_i32 s1, s1, s24
	s_add_i32 s14, s14, s34
	s_add_u32 s1, s13, s1
	s_mul_i32 s13, s2, s27
	s_mul_hi_u32 s15, s2, s26
	s_addc_u32 s14, s12, s14
	s_add_i32 s12, s15, s13
	s_mul_i32 s2, s2, s26
	s_add_i32 s13, s12, s46
	s_mul_i32 s34, s48, s33
	s_add_u32 s12, s1, s2
	s_addc_u32 s13, s14, s13
	s_lshl_b64 s[14:15], s[34:35], 27
	s_mov_b32 s46, 0
	s_mov_b32 s47, s34
	s_set_inst_prefetch_distance 0x1
	.p2align	6
.LBB19_5:                               ;   Parent Loop BB19_3 Depth=1
                                        ; =>  This Inner Loop Header: Depth=2
	v_mad_i64_i32 v[12:13], null, v9, 34, s[12:13]
	v_and_b32_e32 v14, 31, v10
	s_delay_alu instid0(VALU_DEP_1) | instskip(NEXT) | instid1(VALU_DEP_3)
	v_add_co_u32 v14, vcc_lo, v12, v14
	v_add_co_ci_u32_e32 v15, vcc_lo, 0, v13, vcc_lo
	v_add_co_u32 v10, vcc_lo, v10, s34
	s_clause 0x2
	global_load_u16 v16, v[12:13], off
	global_load_i8 v17, v[14:15], off offset:2
	global_load_i8 v14, v[14:15], off offset:3
	v_ashrrev_i64 v[12:13], 30, v[6:7]
	v_add_co_ci_u32_e32 v11, vcc_lo, 0, v11, vcc_lo
	v_add_co_u32 v8, vcc_lo, v8, s14
	v_add_co_ci_u32_e32 v9, vcc_lo, s15, v9, vcc_lo
	s_delay_alu instid0(VALU_DEP_3) | instskip(SKIP_2) | instid1(VALU_DEP_1)
	v_cmp_le_i64_e64 s1, s[4:5], v[10:11]
	v_add_co_u32 v6, vcc_lo, v6, 0
	v_add_co_u32 v12, s2, s44, v12
	v_add_co_ci_u32_e64 v13, s2, s45, v13, s2
	v_add_co_ci_u32_e32 v7, vcc_lo, s47, v7, vcc_lo
	s_or_b32 s46, s1, s46
	s_waitcnt vmcnt(2)
	v_cvt_f32_f16_e32 v15, v16
	s_waitcnt vmcnt(1)
	v_cvt_f32_i32_e32 v16, v17
	s_waitcnt vmcnt(0)
	v_cvt_f32_i32_e32 v14, v14
	s_delay_alu instid0(VALU_DEP_2) | instskip(NEXT) | instid1(VALU_DEP_2)
	v_mul_f32_e32 v16, v15, v16
	v_mul_f32_e32 v15, v15, v14
	s_delay_alu instid0(VALU_DEP_2) | instskip(NEXT) | instid1(VALU_DEP_2)
	v_cvt_i32_f32_e32 v14, v16
	v_cvt_i32_f32_e32 v15, v15
	global_store_b64 v[12:13], v[14:15], off
	s_and_not1_b32 exec_lo, exec_lo, s46
	s_cbranch_execnz .LBB19_5
	s_branch .LBB19_2
.LBB19_6:
	s_nop 0
	s_sendmsg sendmsg(MSG_DEALLOC_VGPRS)
	s_endpgm
	.section	.rodata,"a",@progbits
	.p2align	6, 0x0
	.amdhsa_kernel _ZL10k_get_rowsILi32ELi1EXadL_ZL15dequantize_q8_0PKvliR15HIP_vector_typeIfLj2EEEEiEvS1_PKiPT2_llS2_IjLj3EEmmmmmmmmm
		.amdhsa_group_segment_fixed_size 0
		.amdhsa_private_segment_fixed_size 0
		.amdhsa_kernarg_size 384
		.amdhsa_user_sgpr_count 13
		.amdhsa_user_sgpr_dispatch_ptr 0
		.amdhsa_user_sgpr_queue_ptr 0
		.amdhsa_user_sgpr_kernarg_segment_ptr 1
		.amdhsa_user_sgpr_dispatch_id 0
		.amdhsa_user_sgpr_private_segment_size 0
		.amdhsa_wavefront_size32 1
		.amdhsa_uses_dynamic_stack 0
		.amdhsa_enable_private_segment 0
		.amdhsa_system_sgpr_workgroup_id_x 1
		.amdhsa_system_sgpr_workgroup_id_y 1
		.amdhsa_system_sgpr_workgroup_id_z 1
		.amdhsa_system_sgpr_workgroup_info 0
		.amdhsa_system_vgpr_workitem_id 0
		.amdhsa_next_free_vgpr 18
		.amdhsa_next_free_sgpr 55
		.amdhsa_reserve_vcc 1
		.amdhsa_float_round_mode_32 0
		.amdhsa_float_round_mode_16_64 0
		.amdhsa_float_denorm_mode_32 3
		.amdhsa_float_denorm_mode_16_64 3
		.amdhsa_dx10_clamp 1
		.amdhsa_ieee_mode 1
		.amdhsa_fp16_overflow 0
		.amdhsa_workgroup_processor_mode 1
		.amdhsa_memory_ordered 1
		.amdhsa_forward_progress 0
		.amdhsa_shared_vgpr_count 0
		.amdhsa_exception_fp_ieee_invalid_op 0
		.amdhsa_exception_fp_denorm_src 0
		.amdhsa_exception_fp_ieee_div_zero 0
		.amdhsa_exception_fp_ieee_overflow 0
		.amdhsa_exception_fp_ieee_underflow 0
		.amdhsa_exception_fp_ieee_inexact 0
		.amdhsa_exception_int_div_zero 0
	.end_amdhsa_kernel
	.section	.text._ZL10k_get_rowsILi32ELi1EXadL_ZL15dequantize_q8_0PKvliR15HIP_vector_typeIfLj2EEEEiEvS1_PKiPT2_llS2_IjLj3EEmmmmmmmmm,"axG",@progbits,_ZL10k_get_rowsILi32ELi1EXadL_ZL15dequantize_q8_0PKvliR15HIP_vector_typeIfLj2EEEEiEvS1_PKiPT2_llS2_IjLj3EEmmmmmmmmm,comdat
.Lfunc_end19:
	.size	_ZL10k_get_rowsILi32ELi1EXadL_ZL15dequantize_q8_0PKvliR15HIP_vector_typeIfLj2EEEEiEvS1_PKiPT2_llS2_IjLj3EEmmmmmmmmm, .Lfunc_end19-_ZL10k_get_rowsILi32ELi1EXadL_ZL15dequantize_q8_0PKvliR15HIP_vector_typeIfLj2EEEEiEvS1_PKiPT2_llS2_IjLj3EEmmmmmmmmm
                                        ; -- End function
	.section	.AMDGPU.csdata,"",@progbits
; Kernel info:
; codeLenInByte = 864
; NumSgprs: 57
; NumVgprs: 18
; ScratchSize: 0
; MemoryBound: 0
; FloatMode: 240
; IeeeMode: 1
; LDSByteSize: 0 bytes/workgroup (compile time only)
; SGPRBlocks: 7
; VGPRBlocks: 2
; NumSGPRsForWavesPerEU: 57
; NumVGPRsForWavesPerEU: 18
; Occupancy: 16
; WaveLimiterHint : 1
; COMPUTE_PGM_RSRC2:SCRATCH_EN: 0
; COMPUTE_PGM_RSRC2:USER_SGPR: 13
; COMPUTE_PGM_RSRC2:TRAP_HANDLER: 0
; COMPUTE_PGM_RSRC2:TGID_X_EN: 1
; COMPUTE_PGM_RSRC2:TGID_Y_EN: 1
; COMPUTE_PGM_RSRC2:TGID_Z_EN: 1
; COMPUTE_PGM_RSRC2:TIDIG_COMP_CNT: 0
	.section	.text._ZL16k_get_rows_floatI6__halfS0_EvPKT_PKiPT0_ll15HIP_vector_typeIjLj3EEmmmmmmmmm,"axG",@progbits,_ZL16k_get_rows_floatI6__halfS0_EvPKT_PKiPT0_ll15HIP_vector_typeIjLj3EEmmmmmmmmm,comdat
	.globl	_ZL16k_get_rows_floatI6__halfS0_EvPKT_PKiPT0_ll15HIP_vector_typeIjLj3EEmmmmmmmmm ; -- Begin function _ZL16k_get_rows_floatI6__halfS0_EvPKT_PKiPT0_ll15HIP_vector_typeIjLj3EEmmmmmmmmm
	.p2align	8
	.type	_ZL16k_get_rows_floatI6__halfS0_EvPKT_PKiPT0_ll15HIP_vector_typeIjLj3EEmmmmmmmmm,@function
_ZL16k_get_rows_floatI6__halfS0_EvPKT_PKiPT0_ll15HIP_vector_typeIjLj3EEmmmmmmmmm: ; @_ZL16k_get_rows_floatI6__halfS0_EvPKT_PKiPT0_ll15HIP_vector_typeIjLj3EEmmmmmmmmm
; %bb.0:
	s_clause 0x1
	s_load_b64 s[4:5], s[0:1], 0x20
	s_load_b64 s[34:35], s[0:1], 0x2c
	s_mov_b32 s2, s15
	s_mov_b32 s3, 0
	s_waitcnt lgkmcnt(0)
	s_mul_i32 s5, s35, s5
	s_mul_hi_u32 s6, s35, s4
	s_mul_i32 s36, s35, s4
	s_add_i32 s37, s6, s5
	s_delay_alu instid0(SALU_CYCLE_1) | instskip(NEXT) | instid1(VALU_DEP_1)
	v_cmp_le_i64_e64 s4, s[36:37], s[2:3]
	s_and_b32 vcc_lo, exec_lo, s4
	s_cbranch_vccnz .LBB20_6
; %bb.1:
	s_clause 0x4
	s_load_b64 s[38:39], s[0:1], 0x88
	s_load_b512 s[16:31], s[0:1], 0x38
	s_load_b256 s[4:11], s[0:1], 0x0
	s_load_b64 s[40:41], s[0:1], 0x78
	s_load_b32 s33, s[0:1], 0x28
	s_add_u32 s42, s0, 0x80
	s_addc_u32 s43, s1, 0
	s_ashr_i32 s1, s13, 31
	s_waitcnt lgkmcnt(0)
	s_and_b32 s39, s39, 0xffff
	s_mul_i32 s12, s13, s29
	s_mul_hi_u32 s15, s13, s28
	s_mul_i32 s29, s1, s28
	s_mul_i32 s45, s16, s1
	s_add_i32 s1, s15, s12
	v_mad_u64_u32 v[1:2], null, s14, s39, v[0:1]
	s_mul_i32 s0, s13, s28
	s_add_i32 s1, s1, s29
	v_mov_b32_e32 v2, 0
	s_lshl_b64 s[0:1], s[0:1], 2
	s_mul_hi_u32 s44, s16, s13
	s_add_u32 s28, s6, s0
	s_mul_i32 s12, s17, s13
	s_addc_u32 s29, s7, s1
	s_add_i32 s1, s44, s45
	s_mul_i32 s0, s16, s13
	s_add_i32 s1, s1, s12
	v_lshlrev_b64 v[3:4], 1, v[1:2]
	s_lshl_b64 s[6:7], s[0:1], 1
	v_cmp_gt_i64_e64 s0, s[10:11], v[1:2]
	s_add_u32 s1, s8, s6
	s_addc_u32 s6, s9, s7
	s_mov_b64 s[8:9], s[2:3]
	v_add_co_u32 v0, vcc_lo, s1, v3
	v_add_co_ci_u32_e32 v5, vcc_lo, s6, v4, vcc_lo
	v_add_co_u32 v6, vcc_lo, s4, v3
	v_add_co_ci_u32_e32 v7, vcc_lo, s5, v4, vcc_lo
	s_lshl_b64 s[4:5], s[18:19], 1
	s_lshl_b64 s[6:7], s[20:21], 1
	s_branch .LBB20_3
.LBB20_2:                               ;   in Loop: Header=BB20_3 Depth=1
	s_set_inst_prefetch_distance 0x2
	s_or_b32 exec_lo, exec_lo, s18
	s_add_u32 s8, s8, s38
	s_addc_u32 s9, s9, 0
	s_delay_alu instid0(SALU_CYCLE_1) | instskip(NEXT) | instid1(VALU_DEP_1)
	v_cmp_lt_i64_e64 s1, s[8:9], s[36:37]
	s_and_b32 vcc_lo, exec_lo, s1
	s_cbranch_vccz .LBB20_6
.LBB20_3:                               ; =>This Loop Header: Depth=1
                                        ;     Child Loop BB20_5 Depth 2
	s_and_saveexec_b32 s18, s0
	s_cbranch_execz .LBB20_2
; %bb.4:                                ;   in Loop: Header=BB20_3 Depth=1
	s_mul_hi_u32 s1, s8, s33
	v_dual_mov_b32 v4, v2 :: v_dual_mov_b32 v3, v1
	s_add_i32 s1, s1, s8
	s_delay_alu instid0(SALU_CYCLE_1) | instskip(NEXT) | instid1(SALU_CYCLE_1)
	s_lshr_b32 s1, s1, s34
	s_mul_i32 s2, s1, s35
	s_mul_i32 s12, s1, s31
	s_mul_hi_u32 s13, s1, s30
	s_ashr_i32 s16, s1, 31
	s_add_i32 s12, s13, s12
	s_mul_i32 s13, s16, s30
	s_sub_i32 s17, s8, s2
	s_add_i32 s13, s12, s13
	s_mul_i32 s2, s17, s41
	s_mul_hi_u32 s12, s17, s40
	s_ashr_i32 s19, s17, 31
	s_add_i32 s2, s12, s2
	s_mul_i32 s12, s1, s30
	s_mul_i32 s14, s19, s40
	s_lshl_b64 s[12:13], s[12:13], 2
	s_add_i32 s15, s2, s14
	s_load_b32 s2, s[42:43], 0x4
	s_mul_i32 s14, s17, s40
	s_add_u32 s20, s28, s12
	s_addc_u32 s21, s29, s13
	s_lshl_b64 s[12:13], s[14:15], 2
	s_mul_i32 s14, s1, s25
	s_mul_hi_u32 s15, s1, s24
	s_add_u32 s12, s20, s12
	s_addc_u32 s13, s21, s13
	s_add_i32 s14, s15, s14
	s_mul_i32 s15, s16, s24
	s_mul_hi_u32 s21, s6, s17
	s_add_i32 s20, s14, s15
	s_mul_i32 s14, s4, s16
	s_mul_hi_u32 s15, s4, s1
	s_mul_i32 s16, s1, s24
	s_add_i32 s14, s15, s14
	s_mul_i32 s15, s5, s1
	s_mul_i32 s1, s4, s1
	s_add_i32 s14, s14, s15
	s_mul_i32 s15, s6, s19
	;; [unrolled: 3-line block ×3, first 2 shown]
	s_waitcnt lgkmcnt(0)
	s_mul_i32 s2, s2, s39
	s_add_i32 s15, s15, s21
	s_add_u32 s1, s1, s44
	s_addc_u32 s14, s14, s15
	v_add_co_u32 v8, vcc_lo, v0, s1
	s_mul_i32 s1, s26, s19
	s_mul_hi_u32 s19, s26, s17
	v_add_co_ci_u32_e32 v9, vcc_lo, s14, v5, vcc_lo
	s_add_i32 s1, s19, s1
	s_mul_i32 s19, s27, s17
	s_mul_i32 s17, s26, s17
	s_lshl_b64 s[14:15], s[2:3], 1
	s_add_i32 s1, s1, s19
	s_add_u32 s16, s16, s17
	s_addc_u32 s1, s20, s1
	v_add_co_u32 v10, vcc_lo, v6, s16
	v_add_co_ci_u32_e32 v11, vcc_lo, s1, v7, vcc_lo
	s_mov_b64 s[16:17], 0
	s_mov_b32 s19, 0
	s_set_inst_prefetch_distance 0x1
	.p2align	6
.LBB20_5:                               ;   Parent Loop BB20_3 Depth=1
                                        ; =>  This Inner Loop Header: Depth=2
	global_load_b32 v12, v2, s[12:13]
	s_waitcnt vmcnt(0)
	v_mul_lo_u32 v13, v12, s23
	v_mul_hi_u32 v14, v12, s22
	v_ashrrev_i32_e32 v15, 31, v12
	v_mul_lo_u32 v12, v12, s22
	s_delay_alu instid0(VALU_DEP_2) | instskip(NEXT) | instid1(VALU_DEP_4)
	v_mul_lo_u32 v15, v15, s22
	v_add_nc_u32_e32 v13, v14, v13
	s_delay_alu instid0(VALU_DEP_3) | instskip(NEXT) | instid1(VALU_DEP_2)
	v_add_co_u32 v12, vcc_lo, s16, v12
	v_add_nc_u32_e32 v13, v13, v15
	s_delay_alu instid0(VALU_DEP_1) | instskip(NEXT) | instid1(VALU_DEP_3)
	v_add_co_ci_u32_e32 v13, vcc_lo, s17, v13, vcc_lo
	v_add_co_u32 v12, vcc_lo, v10, v12
	s_delay_alu instid0(VALU_DEP_2)
	v_add_co_ci_u32_e32 v13, vcc_lo, v11, v13, vcc_lo
	v_add_co_u32 v3, vcc_lo, v3, s2
	v_add_co_ci_u32_e32 v4, vcc_lo, 0, v4, vcc_lo
	global_load_u16 v14, v[12:13], off
	v_add_co_u32 v12, s1, v8, s16
	v_cmp_le_i64_e32 vcc_lo, s[10:11], v[3:4]
	v_add_co_ci_u32_e64 v13, s1, s17, v9, s1
	s_add_u32 s16, s16, s14
	s_addc_u32 s17, s17, s15
	s_or_b32 s19, vcc_lo, s19
	s_waitcnt vmcnt(0)
	global_store_b16 v[12:13], v14, off
	s_and_not1_b32 exec_lo, exec_lo, s19
	s_cbranch_execnz .LBB20_5
	s_branch .LBB20_2
.LBB20_6:
	s_nop 0
	s_sendmsg sendmsg(MSG_DEALLOC_VGPRS)
	s_endpgm
	.section	.rodata,"a",@progbits
	.p2align	6, 0x0
	.amdhsa_kernel _ZL16k_get_rows_floatI6__halfS0_EvPKT_PKiPT0_ll15HIP_vector_typeIjLj3EEmmmmmmmmm
		.amdhsa_group_segment_fixed_size 0
		.amdhsa_private_segment_fixed_size 0
		.amdhsa_kernarg_size 384
		.amdhsa_user_sgpr_count 13
		.amdhsa_user_sgpr_dispatch_ptr 0
		.amdhsa_user_sgpr_queue_ptr 0
		.amdhsa_user_sgpr_kernarg_segment_ptr 1
		.amdhsa_user_sgpr_dispatch_id 0
		.amdhsa_user_sgpr_private_segment_size 0
		.amdhsa_wavefront_size32 1
		.amdhsa_uses_dynamic_stack 0
		.amdhsa_enable_private_segment 0
		.amdhsa_system_sgpr_workgroup_id_x 1
		.amdhsa_system_sgpr_workgroup_id_y 1
		.amdhsa_system_sgpr_workgroup_id_z 1
		.amdhsa_system_sgpr_workgroup_info 0
		.amdhsa_system_vgpr_workitem_id 0
		.amdhsa_next_free_vgpr 16
		.amdhsa_next_free_sgpr 46
		.amdhsa_reserve_vcc 1
		.amdhsa_float_round_mode_32 0
		.amdhsa_float_round_mode_16_64 0
		.amdhsa_float_denorm_mode_32 3
		.amdhsa_float_denorm_mode_16_64 3
		.amdhsa_dx10_clamp 1
		.amdhsa_ieee_mode 1
		.amdhsa_fp16_overflow 0
		.amdhsa_workgroup_processor_mode 1
		.amdhsa_memory_ordered 1
		.amdhsa_forward_progress 0
		.amdhsa_shared_vgpr_count 0
		.amdhsa_exception_fp_ieee_invalid_op 0
		.amdhsa_exception_fp_denorm_src 0
		.amdhsa_exception_fp_ieee_div_zero 0
		.amdhsa_exception_fp_ieee_overflow 0
		.amdhsa_exception_fp_ieee_underflow 0
		.amdhsa_exception_fp_ieee_inexact 0
		.amdhsa_exception_int_div_zero 0
	.end_amdhsa_kernel
	.section	.text._ZL16k_get_rows_floatI6__halfS0_EvPKT_PKiPT0_ll15HIP_vector_typeIjLj3EEmmmmmmmmm,"axG",@progbits,_ZL16k_get_rows_floatI6__halfS0_EvPKT_PKiPT0_ll15HIP_vector_typeIjLj3EEmmmmmmmmm,comdat
.Lfunc_end20:
	.size	_ZL16k_get_rows_floatI6__halfS0_EvPKT_PKiPT0_ll15HIP_vector_typeIjLj3EEmmmmmmmmm, .Lfunc_end20-_ZL16k_get_rows_floatI6__halfS0_EvPKT_PKiPT0_ll15HIP_vector_typeIjLj3EEmmmmmmmmm
                                        ; -- End function
	.section	.AMDGPU.csdata,"",@progbits
; Kernel info:
; codeLenInByte = 788
; NumSgprs: 48
; NumVgprs: 16
; ScratchSize: 0
; MemoryBound: 0
; FloatMode: 240
; IeeeMode: 1
; LDSByteSize: 0 bytes/workgroup (compile time only)
; SGPRBlocks: 5
; VGPRBlocks: 1
; NumSGPRsForWavesPerEU: 48
; NumVGPRsForWavesPerEU: 16
; Occupancy: 16
; WaveLimiterHint : 1
; COMPUTE_PGM_RSRC2:SCRATCH_EN: 0
; COMPUTE_PGM_RSRC2:USER_SGPR: 13
; COMPUTE_PGM_RSRC2:TRAP_HANDLER: 0
; COMPUTE_PGM_RSRC2:TGID_X_EN: 1
; COMPUTE_PGM_RSRC2:TGID_Y_EN: 1
; COMPUTE_PGM_RSRC2:TGID_Z_EN: 1
; COMPUTE_PGM_RSRC2:TIDIG_COMP_CNT: 0
	.section	.text._ZL16k_get_rows_floatIf6__halfEvPKT_PKiPT0_ll15HIP_vector_typeIjLj3EEmmmmmmmmm,"axG",@progbits,_ZL16k_get_rows_floatIf6__halfEvPKT_PKiPT0_ll15HIP_vector_typeIjLj3EEmmmmmmmmm,comdat
	.globl	_ZL16k_get_rows_floatIf6__halfEvPKT_PKiPT0_ll15HIP_vector_typeIjLj3EEmmmmmmmmm ; -- Begin function _ZL16k_get_rows_floatIf6__halfEvPKT_PKiPT0_ll15HIP_vector_typeIjLj3EEmmmmmmmmm
	.p2align	8
	.type	_ZL16k_get_rows_floatIf6__halfEvPKT_PKiPT0_ll15HIP_vector_typeIjLj3EEmmmmmmmmm,@function
_ZL16k_get_rows_floatIf6__halfEvPKT_PKiPT0_ll15HIP_vector_typeIjLj3EEmmmmmmmmm: ; @_ZL16k_get_rows_floatIf6__halfEvPKT_PKiPT0_ll15HIP_vector_typeIjLj3EEmmmmmmmmm
; %bb.0:
	s_clause 0x1
	s_load_b64 s[4:5], s[0:1], 0x20
	s_load_b64 s[34:35], s[0:1], 0x2c
	s_mov_b32 s2, s15
	s_mov_b32 s3, 0
	s_waitcnt lgkmcnt(0)
	s_mul_i32 s5, s35, s5
	s_mul_hi_u32 s6, s35, s4
	s_mul_i32 s36, s35, s4
	s_add_i32 s37, s6, s5
	s_delay_alu instid0(SALU_CYCLE_1) | instskip(NEXT) | instid1(VALU_DEP_1)
	v_cmp_le_i64_e64 s4, s[36:37], s[2:3]
	s_and_b32 vcc_lo, exec_lo, s4
	s_cbranch_vccnz .LBB21_6
; %bb.1:
	s_clause 0x4
	s_load_b64 s[38:39], s[0:1], 0x88
	s_load_b512 s[16:31], s[0:1], 0x38
	s_load_b64 s[40:41], s[0:1], 0x78
	s_load_b256 s[4:11], s[0:1], 0x0
	s_load_b32 s33, s[0:1], 0x28
	s_add_u32 s42, s0, 0x80
	s_addc_u32 s43, s1, 0
	s_ashr_i32 s1, s13, 31
	s_waitcnt lgkmcnt(0)
	s_and_b32 s39, s39, 0xffff
	s_mul_i32 s12, s13, s29
	s_mul_hi_u32 s15, s13, s28
	s_mul_i32 s29, s1, s28
	s_mul_i32 s45, s16, s1
	s_add_i32 s1, s15, s12
	v_mad_u64_u32 v[1:2], null, s14, s39, v[0:1]
	s_mul_i32 s0, s13, s28
	s_add_i32 s1, s1, s29
	v_mov_b32_e32 v2, 0
	s_lshl_b64 s[0:1], s[0:1], 2
	s_mul_hi_u32 s44, s16, s13
	s_add_u32 s28, s6, s0
	s_mul_i32 s17, s17, s13
	s_addc_u32 s29, s7, s1
	s_add_i32 s1, s44, s45
	s_mul_i32 s12, s16, s13
	s_add_i32 s13, s1, s17
	v_lshlrev_b64 v[3:4], 1, v[1:2]
	s_lshl_b64 s[6:7], s[12:13], 1
	v_lshlrev_b64 v[5:6], 2, v[1:2]
	s_add_u32 s1, s8, s6
	s_addc_u32 s6, s9, s7
	v_cmp_gt_i64_e64 s0, s[10:11], v[1:2]
	v_add_co_u32 v0, vcc_lo, s1, v3
	v_add_co_ci_u32_e32 v9, vcc_lo, s6, v4, vcc_lo
	v_add_co_u32 v10, vcc_lo, s4, v5
	v_add_co_ci_u32_e32 v11, vcc_lo, s5, v6, vcc_lo
	s_lshl_b64 s[4:5], s[18:19], 1
	s_lshl_b64 s[6:7], s[20:21], 1
	s_mov_b64 s[8:9], s[2:3]
	s_branch .LBB21_3
.LBB21_2:                               ;   in Loop: Header=BB21_3 Depth=1
	s_or_b32 exec_lo, exec_lo, s18
	s_add_u32 s8, s8, s38
	s_addc_u32 s9, s9, 0
	s_delay_alu instid0(SALU_CYCLE_1) | instskip(NEXT) | instid1(VALU_DEP_1)
	v_cmp_lt_i64_e64 s1, s[8:9], s[36:37]
	s_and_b32 vcc_lo, exec_lo, s1
	s_cbranch_vccz .LBB21_6
.LBB21_3:                               ; =>This Loop Header: Depth=1
                                        ;     Child Loop BB21_5 Depth 2
	s_and_saveexec_b32 s18, s0
	s_cbranch_execz .LBB21_2
; %bb.4:                                ;   in Loop: Header=BB21_3 Depth=1
	s_mul_hi_u32 s1, s8, s33
	v_dual_mov_b32 v8, v2 :: v_dual_mov_b32 v7, v1
	s_add_i32 s1, s1, s8
	s_delay_alu instid0(SALU_CYCLE_1) | instskip(NEXT) | instid1(SALU_CYCLE_1)
	s_lshr_b32 s1, s1, s34
	s_mul_i32 s2, s1, s35
	s_mul_i32 s12, s1, s31
	s_mul_hi_u32 s13, s1, s30
	s_ashr_i32 s16, s1, 31
	s_add_i32 s12, s13, s12
	s_mul_i32 s13, s16, s30
	s_sub_i32 s17, s8, s2
	s_add_i32 s13, s12, s13
	s_mul_i32 s2, s17, s41
	s_mul_hi_u32 s12, s17, s40
	s_ashr_i32 s19, s17, 31
	s_add_i32 s2, s12, s2
	s_mul_i32 s12, s1, s30
	s_mul_i32 s14, s19, s40
	s_lshl_b64 s[12:13], s[12:13], 2
	s_add_i32 s15, s2, s14
	s_load_b32 s2, s[42:43], 0x4
	s_mul_i32 s14, s17, s40
	s_add_u32 s20, s28, s12
	s_addc_u32 s21, s29, s13
	s_lshl_b64 s[12:13], s[14:15], 2
	s_mul_i32 s14, s1, s25
	s_mul_hi_u32 s15, s1, s24
	s_add_u32 s12, s20, s12
	s_addc_u32 s13, s21, s13
	s_add_i32 s14, s15, s14
	s_mul_i32 s15, s16, s24
	s_mul_hi_u32 s21, s6, s17
	s_add_i32 s20, s14, s15
	s_mul_i32 s14, s4, s16
	s_mul_hi_u32 s15, s4, s1
	s_mul_i32 s16, s1, s24
	s_add_i32 s14, s15, s14
	s_mul_i32 s15, s5, s1
	s_mul_i32 s1, s4, s1
	s_add_i32 s14, s14, s15
	s_mul_i32 s15, s6, s19
	;; [unrolled: 3-line block ×3, first 2 shown]
	s_waitcnt lgkmcnt(0)
	s_mul_i32 s2, s2, s39
	s_add_i32 s15, s15, s21
	s_add_u32 s1, s1, s44
	s_addc_u32 s14, s14, s15
	v_add_co_u32 v3, vcc_lo, v0, s1
	s_mul_i32 s1, s26, s19
	s_mul_hi_u32 s19, s26, s17
	v_add_co_ci_u32_e32 v4, vcc_lo, s14, v9, vcc_lo
	s_add_i32 s1, s19, s1
	s_mul_i32 s19, s27, s17
	s_mul_i32 s17, s26, s17
	s_lshl_b64 s[14:15], s[2:3], 1
	s_add_i32 s1, s1, s19
	s_add_u32 s16, s16, s17
	s_addc_u32 s1, s20, s1
	v_add_co_u32 v5, vcc_lo, v10, s16
	v_add_co_ci_u32_e32 v6, vcc_lo, s1, v11, vcc_lo
	s_lshl_b64 s[16:17], s[2:3], 2
	s_mov_b32 s19, 0
	.p2align	6
.LBB21_5:                               ;   Parent Loop BB21_3 Depth=1
                                        ; =>  This Inner Loop Header: Depth=2
	global_load_b32 v14, v2, s[12:13]
	v_add_co_u32 v7, vcc_lo, v7, s2
	v_add_co_ci_u32_e32 v8, vcc_lo, 0, v8, vcc_lo
	s_delay_alu instid0(VALU_DEP_1)
	v_cmp_le_i64_e32 vcc_lo, s[10:11], v[7:8]
	s_or_b32 s19, vcc_lo, s19
	s_waitcnt vmcnt(0)
	v_ashrrev_i32_e32 v15, 31, v14
	v_mul_lo_u32 v16, v14, s23
	v_mad_u64_u32 v[12:13], null, v14, s22, v[5:6]
	v_add_co_u32 v5, s1, v5, s16
	s_delay_alu instid0(VALU_DEP_4) | instskip(SKIP_1) | instid1(VALU_DEP_2)
	v_mul_lo_u32 v14, v15, s22
	v_add_co_ci_u32_e64 v6, s1, s17, v6, s1
	v_add3_u32 v13, v16, v14, v13
	global_load_b32 v12, v[12:13], off
	s_waitcnt vmcnt(0)
	v_cvt_f16_f32_e32 v12, v12
	global_store_b16 v[3:4], v12, off
	v_add_co_u32 v3, s1, v3, s14
	s_delay_alu instid0(VALU_DEP_1)
	v_add_co_ci_u32_e64 v4, s1, s15, v4, s1
	s_and_not1_b32 exec_lo, exec_lo, s19
	s_cbranch_execnz .LBB21_5
	s_branch .LBB21_2
.LBB21_6:
	s_nop 0
	s_sendmsg sendmsg(MSG_DEALLOC_VGPRS)
	s_endpgm
	.section	.rodata,"a",@progbits
	.p2align	6, 0x0
	.amdhsa_kernel _ZL16k_get_rows_floatIf6__halfEvPKT_PKiPT0_ll15HIP_vector_typeIjLj3EEmmmmmmmmm
		.amdhsa_group_segment_fixed_size 0
		.amdhsa_private_segment_fixed_size 0
		.amdhsa_kernarg_size 384
		.amdhsa_user_sgpr_count 13
		.amdhsa_user_sgpr_dispatch_ptr 0
		.amdhsa_user_sgpr_queue_ptr 0
		.amdhsa_user_sgpr_kernarg_segment_ptr 1
		.amdhsa_user_sgpr_dispatch_id 0
		.amdhsa_user_sgpr_private_segment_size 0
		.amdhsa_wavefront_size32 1
		.amdhsa_uses_dynamic_stack 0
		.amdhsa_enable_private_segment 0
		.amdhsa_system_sgpr_workgroup_id_x 1
		.amdhsa_system_sgpr_workgroup_id_y 1
		.amdhsa_system_sgpr_workgroup_id_z 1
		.amdhsa_system_sgpr_workgroup_info 0
		.amdhsa_system_vgpr_workitem_id 0
		.amdhsa_next_free_vgpr 17
		.amdhsa_next_free_sgpr 46
		.amdhsa_reserve_vcc 1
		.amdhsa_float_round_mode_32 0
		.amdhsa_float_round_mode_16_64 0
		.amdhsa_float_denorm_mode_32 3
		.amdhsa_float_denorm_mode_16_64 3
		.amdhsa_dx10_clamp 1
		.amdhsa_ieee_mode 1
		.amdhsa_fp16_overflow 0
		.amdhsa_workgroup_processor_mode 1
		.amdhsa_memory_ordered 1
		.amdhsa_forward_progress 0
		.amdhsa_shared_vgpr_count 0
		.amdhsa_exception_fp_ieee_invalid_op 0
		.amdhsa_exception_fp_denorm_src 0
		.amdhsa_exception_fp_ieee_div_zero 0
		.amdhsa_exception_fp_ieee_overflow 0
		.amdhsa_exception_fp_ieee_underflow 0
		.amdhsa_exception_fp_ieee_inexact 0
		.amdhsa_exception_int_div_zero 0
	.end_amdhsa_kernel
	.section	.text._ZL16k_get_rows_floatIf6__halfEvPKT_PKiPT0_ll15HIP_vector_typeIjLj3EEmmmmmmmmm,"axG",@progbits,_ZL16k_get_rows_floatIf6__halfEvPKT_PKiPT0_ll15HIP_vector_typeIjLj3EEmmmmmmmmm,comdat
.Lfunc_end21:
	.size	_ZL16k_get_rows_floatIf6__halfEvPKT_PKiPT0_ll15HIP_vector_typeIjLj3EEmmmmmmmmm, .Lfunc_end21-_ZL16k_get_rows_floatIf6__halfEvPKT_PKiPT0_ll15HIP_vector_typeIjLj3EEmmmmmmmmm
                                        ; -- End function
	.section	.AMDGPU.csdata,"",@progbits
; Kernel info:
; codeLenInByte = 764
; NumSgprs: 48
; NumVgprs: 17
; ScratchSize: 0
; MemoryBound: 0
; FloatMode: 240
; IeeeMode: 1
; LDSByteSize: 0 bytes/workgroup (compile time only)
; SGPRBlocks: 5
; VGPRBlocks: 2
; NumSGPRsForWavesPerEU: 48
; NumVGPRsForWavesPerEU: 17
; Occupancy: 16
; WaveLimiterHint : 1
; COMPUTE_PGM_RSRC2:SCRATCH_EN: 0
; COMPUTE_PGM_RSRC2:USER_SGPR: 13
; COMPUTE_PGM_RSRC2:TRAP_HANDLER: 0
; COMPUTE_PGM_RSRC2:TGID_X_EN: 1
; COMPUTE_PGM_RSRC2:TGID_Y_EN: 1
; COMPUTE_PGM_RSRC2:TGID_Z_EN: 1
; COMPUTE_PGM_RSRC2:TIDIG_COMP_CNT: 0
	.section	.text._ZL16k_get_rows_floatIi6__halfEvPKT_PKiPT0_ll15HIP_vector_typeIjLj3EEmmmmmmmmm,"axG",@progbits,_ZL16k_get_rows_floatIi6__halfEvPKT_PKiPT0_ll15HIP_vector_typeIjLj3EEmmmmmmmmm,comdat
	.globl	_ZL16k_get_rows_floatIi6__halfEvPKT_PKiPT0_ll15HIP_vector_typeIjLj3EEmmmmmmmmm ; -- Begin function _ZL16k_get_rows_floatIi6__halfEvPKT_PKiPT0_ll15HIP_vector_typeIjLj3EEmmmmmmmmm
	.p2align	8
	.type	_ZL16k_get_rows_floatIi6__halfEvPKT_PKiPT0_ll15HIP_vector_typeIjLj3EEmmmmmmmmm,@function
_ZL16k_get_rows_floatIi6__halfEvPKT_PKiPT0_ll15HIP_vector_typeIjLj3EEmmmmmmmmm: ; @_ZL16k_get_rows_floatIi6__halfEvPKT_PKiPT0_ll15HIP_vector_typeIjLj3EEmmmmmmmmm
; %bb.0:
	s_clause 0x1
	s_load_b64 s[4:5], s[0:1], 0x20
	s_load_b64 s[34:35], s[0:1], 0x2c
	s_mov_b32 s2, s15
	s_mov_b32 s3, 0
	s_waitcnt lgkmcnt(0)
	s_mul_i32 s5, s35, s5
	s_mul_hi_u32 s6, s35, s4
	s_mul_i32 s36, s35, s4
	s_add_i32 s37, s6, s5
	s_delay_alu instid0(SALU_CYCLE_1) | instskip(NEXT) | instid1(VALU_DEP_1)
	v_cmp_le_i64_e64 s4, s[36:37], s[2:3]
	s_and_b32 vcc_lo, exec_lo, s4
	s_cbranch_vccnz .LBB22_6
; %bb.1:
	s_clause 0x4
	s_load_b64 s[38:39], s[0:1], 0x88
	s_load_b512 s[16:31], s[0:1], 0x38
	s_load_b64 s[40:41], s[0:1], 0x78
	s_load_b256 s[4:11], s[0:1], 0x0
	s_load_b32 s33, s[0:1], 0x28
	s_add_u32 s42, s0, 0x80
	s_addc_u32 s43, s1, 0
	s_ashr_i32 s1, s13, 31
	s_waitcnt lgkmcnt(0)
	s_and_b32 s39, s39, 0xffff
	s_mul_i32 s12, s13, s29
	s_mul_hi_u32 s15, s13, s28
	s_mul_i32 s29, s1, s28
	s_mul_i32 s45, s16, s1
	s_add_i32 s1, s15, s12
	v_mad_u64_u32 v[1:2], null, s14, s39, v[0:1]
	s_mul_i32 s0, s13, s28
	s_add_i32 s1, s1, s29
	v_mov_b32_e32 v2, 0
	s_lshl_b64 s[0:1], s[0:1], 2
	s_mul_hi_u32 s44, s16, s13
	s_add_u32 s28, s6, s0
	s_mul_i32 s17, s17, s13
	s_addc_u32 s29, s7, s1
	s_add_i32 s1, s44, s45
	s_mul_i32 s12, s16, s13
	s_add_i32 s13, s1, s17
	v_lshlrev_b64 v[3:4], 1, v[1:2]
	s_lshl_b64 s[6:7], s[12:13], 1
	v_lshlrev_b64 v[5:6], 2, v[1:2]
	s_add_u32 s1, s8, s6
	s_addc_u32 s6, s9, s7
	v_cmp_gt_i64_e64 s0, s[10:11], v[1:2]
	v_add_co_u32 v0, vcc_lo, s1, v3
	v_add_co_ci_u32_e32 v9, vcc_lo, s6, v4, vcc_lo
	v_add_co_u32 v10, vcc_lo, s4, v5
	v_add_co_ci_u32_e32 v11, vcc_lo, s5, v6, vcc_lo
	s_lshl_b64 s[4:5], s[18:19], 1
	s_lshl_b64 s[6:7], s[20:21], 1
	s_mov_b64 s[8:9], s[2:3]
	s_branch .LBB22_3
.LBB22_2:                               ;   in Loop: Header=BB22_3 Depth=1
	s_set_inst_prefetch_distance 0x2
	s_or_b32 exec_lo, exec_lo, s18
	s_add_u32 s8, s8, s38
	s_addc_u32 s9, s9, 0
	s_delay_alu instid0(SALU_CYCLE_1) | instskip(NEXT) | instid1(VALU_DEP_1)
	v_cmp_lt_i64_e64 s1, s[8:9], s[36:37]
	s_and_b32 vcc_lo, exec_lo, s1
	s_cbranch_vccz .LBB22_6
.LBB22_3:                               ; =>This Loop Header: Depth=1
                                        ;     Child Loop BB22_5 Depth 2
	s_and_saveexec_b32 s18, s0
	s_cbranch_execz .LBB22_2
; %bb.4:                                ;   in Loop: Header=BB22_3 Depth=1
	s_mul_hi_u32 s1, s8, s33
	v_dual_mov_b32 v8, v2 :: v_dual_mov_b32 v7, v1
	s_add_i32 s1, s1, s8
	s_delay_alu instid0(SALU_CYCLE_1) | instskip(NEXT) | instid1(SALU_CYCLE_1)
	s_lshr_b32 s1, s1, s34
	s_mul_i32 s2, s1, s35
	s_mul_i32 s12, s1, s31
	s_mul_hi_u32 s13, s1, s30
	s_ashr_i32 s16, s1, 31
	s_add_i32 s12, s13, s12
	s_mul_i32 s13, s16, s30
	s_sub_i32 s17, s8, s2
	s_add_i32 s13, s12, s13
	s_mul_i32 s2, s17, s41
	s_mul_hi_u32 s12, s17, s40
	s_ashr_i32 s19, s17, 31
	s_add_i32 s2, s12, s2
	s_mul_i32 s12, s1, s30
	s_mul_i32 s14, s19, s40
	s_lshl_b64 s[12:13], s[12:13], 2
	s_add_i32 s15, s2, s14
	s_load_b32 s2, s[42:43], 0x4
	s_mul_i32 s14, s17, s40
	s_add_u32 s20, s28, s12
	s_addc_u32 s21, s29, s13
	s_lshl_b64 s[12:13], s[14:15], 2
	s_mul_i32 s14, s1, s25
	s_mul_hi_u32 s15, s1, s24
	s_add_u32 s12, s20, s12
	s_addc_u32 s13, s21, s13
	s_add_i32 s14, s15, s14
	s_mul_i32 s15, s16, s24
	s_mul_hi_u32 s21, s6, s17
	s_add_i32 s20, s14, s15
	s_mul_i32 s14, s4, s16
	s_mul_hi_u32 s15, s4, s1
	s_mul_i32 s16, s1, s24
	s_add_i32 s14, s15, s14
	s_mul_i32 s15, s5, s1
	s_mul_i32 s1, s4, s1
	s_add_i32 s14, s14, s15
	s_mul_i32 s15, s6, s19
	;; [unrolled: 3-line block ×3, first 2 shown]
	s_waitcnt lgkmcnt(0)
	s_mul_i32 s2, s2, s39
	s_add_i32 s15, s15, s21
	s_add_u32 s1, s1, s44
	s_addc_u32 s14, s14, s15
	v_add_co_u32 v3, vcc_lo, v0, s1
	s_mul_i32 s1, s26, s19
	s_mul_hi_u32 s19, s26, s17
	v_add_co_ci_u32_e32 v4, vcc_lo, s14, v9, vcc_lo
	s_add_i32 s1, s19, s1
	s_mul_i32 s19, s27, s17
	s_mul_i32 s17, s26, s17
	s_lshl_b64 s[14:15], s[2:3], 1
	s_add_i32 s1, s1, s19
	s_add_u32 s16, s16, s17
	s_addc_u32 s1, s20, s1
	v_add_co_u32 v5, vcc_lo, v10, s16
	v_add_co_ci_u32_e32 v6, vcc_lo, s1, v11, vcc_lo
	s_lshl_b64 s[16:17], s[2:3], 2
	s_mov_b32 s19, 0
	s_set_inst_prefetch_distance 0x1
	.p2align	6
.LBB22_5:                               ;   Parent Loop BB22_3 Depth=1
                                        ; =>  This Inner Loop Header: Depth=2
	global_load_b32 v14, v2, s[12:13]
	v_add_co_u32 v7, vcc_lo, v7, s2
	v_add_co_ci_u32_e32 v8, vcc_lo, 0, v8, vcc_lo
	s_delay_alu instid0(VALU_DEP_1)
	v_cmp_le_i64_e32 vcc_lo, s[10:11], v[7:8]
	s_or_b32 s19, vcc_lo, s19
	s_waitcnt vmcnt(0)
	v_ashrrev_i32_e32 v15, 31, v14
	v_mul_lo_u32 v16, v14, s23
	v_mad_u64_u32 v[12:13], null, v14, s22, v[5:6]
	v_add_co_u32 v5, s1, v5, s16
	s_delay_alu instid0(VALU_DEP_4) | instskip(SKIP_1) | instid1(VALU_DEP_2)
	v_mul_lo_u32 v14, v15, s22
	v_add_co_ci_u32_e64 v6, s1, s17, v6, s1
	v_add3_u32 v13, v16, v14, v13
	global_load_b32 v12, v[12:13], off
	s_waitcnt vmcnt(0)
	v_cvt_f32_i32_e32 v12, v12
	s_delay_alu instid0(VALU_DEP_1) | instskip(SKIP_2) | instid1(VALU_DEP_1)
	v_cvt_f16_f32_e32 v12, v12
	global_store_b16 v[3:4], v12, off
	v_add_co_u32 v3, s1, v3, s14
	v_add_co_ci_u32_e64 v4, s1, s15, v4, s1
	s_and_not1_b32 exec_lo, exec_lo, s19
	s_cbranch_execnz .LBB22_5
	s_branch .LBB22_2
.LBB22_6:
	s_nop 0
	s_sendmsg sendmsg(MSG_DEALLOC_VGPRS)
	s_endpgm
	.section	.rodata,"a",@progbits
	.p2align	6, 0x0
	.amdhsa_kernel _ZL16k_get_rows_floatIi6__halfEvPKT_PKiPT0_ll15HIP_vector_typeIjLj3EEmmmmmmmmm
		.amdhsa_group_segment_fixed_size 0
		.amdhsa_private_segment_fixed_size 0
		.amdhsa_kernarg_size 384
		.amdhsa_user_sgpr_count 13
		.amdhsa_user_sgpr_dispatch_ptr 0
		.amdhsa_user_sgpr_queue_ptr 0
		.amdhsa_user_sgpr_kernarg_segment_ptr 1
		.amdhsa_user_sgpr_dispatch_id 0
		.amdhsa_user_sgpr_private_segment_size 0
		.amdhsa_wavefront_size32 1
		.amdhsa_uses_dynamic_stack 0
		.amdhsa_enable_private_segment 0
		.amdhsa_system_sgpr_workgroup_id_x 1
		.amdhsa_system_sgpr_workgroup_id_y 1
		.amdhsa_system_sgpr_workgroup_id_z 1
		.amdhsa_system_sgpr_workgroup_info 0
		.amdhsa_system_vgpr_workitem_id 0
		.amdhsa_next_free_vgpr 17
		.amdhsa_next_free_sgpr 46
		.amdhsa_reserve_vcc 1
		.amdhsa_float_round_mode_32 0
		.amdhsa_float_round_mode_16_64 0
		.amdhsa_float_denorm_mode_32 3
		.amdhsa_float_denorm_mode_16_64 3
		.amdhsa_dx10_clamp 1
		.amdhsa_ieee_mode 1
		.amdhsa_fp16_overflow 0
		.amdhsa_workgroup_processor_mode 1
		.amdhsa_memory_ordered 1
		.amdhsa_forward_progress 0
		.amdhsa_shared_vgpr_count 0
		.amdhsa_exception_fp_ieee_invalid_op 0
		.amdhsa_exception_fp_denorm_src 0
		.amdhsa_exception_fp_ieee_div_zero 0
		.amdhsa_exception_fp_ieee_overflow 0
		.amdhsa_exception_fp_ieee_underflow 0
		.amdhsa_exception_fp_ieee_inexact 0
		.amdhsa_exception_int_div_zero 0
	.end_amdhsa_kernel
	.section	.text._ZL16k_get_rows_floatIi6__halfEvPKT_PKiPT0_ll15HIP_vector_typeIjLj3EEmmmmmmmmm,"axG",@progbits,_ZL16k_get_rows_floatIi6__halfEvPKT_PKiPT0_ll15HIP_vector_typeIjLj3EEmmmmmmmmm,comdat
.Lfunc_end22:
	.size	_ZL16k_get_rows_floatIi6__halfEvPKT_PKiPT0_ll15HIP_vector_typeIjLj3EEmmmmmmmmm, .Lfunc_end22-_ZL16k_get_rows_floatIi6__halfEvPKT_PKiPT0_ll15HIP_vector_typeIjLj3EEmmmmmmmmm
                                        ; -- End function
	.section	.AMDGPU.csdata,"",@progbits
; Kernel info:
; codeLenInByte = 776
; NumSgprs: 48
; NumVgprs: 17
; ScratchSize: 0
; MemoryBound: 0
; FloatMode: 240
; IeeeMode: 1
; LDSByteSize: 0 bytes/workgroup (compile time only)
; SGPRBlocks: 5
; VGPRBlocks: 2
; NumSGPRsForWavesPerEU: 48
; NumVGPRsForWavesPerEU: 17
; Occupancy: 16
; WaveLimiterHint : 1
; COMPUTE_PGM_RSRC2:SCRATCH_EN: 0
; COMPUTE_PGM_RSRC2:USER_SGPR: 13
; COMPUTE_PGM_RSRC2:TRAP_HANDLER: 0
; COMPUTE_PGM_RSRC2:TGID_X_EN: 1
; COMPUTE_PGM_RSRC2:TGID_Y_EN: 1
; COMPUTE_PGM_RSRC2:TGID_Z_EN: 1
; COMPUTE_PGM_RSRC2:TIDIG_COMP_CNT: 0
	.section	.text._ZL16k_get_rows_floatI14__hip_bfloat166__halfEvPKT_PKiPT0_ll15HIP_vector_typeIjLj3EEmmmmmmmmm,"axG",@progbits,_ZL16k_get_rows_floatI14__hip_bfloat166__halfEvPKT_PKiPT0_ll15HIP_vector_typeIjLj3EEmmmmmmmmm,comdat
	.globl	_ZL16k_get_rows_floatI14__hip_bfloat166__halfEvPKT_PKiPT0_ll15HIP_vector_typeIjLj3EEmmmmmmmmm ; -- Begin function _ZL16k_get_rows_floatI14__hip_bfloat166__halfEvPKT_PKiPT0_ll15HIP_vector_typeIjLj3EEmmmmmmmmm
	.p2align	8
	.type	_ZL16k_get_rows_floatI14__hip_bfloat166__halfEvPKT_PKiPT0_ll15HIP_vector_typeIjLj3EEmmmmmmmmm,@function
_ZL16k_get_rows_floatI14__hip_bfloat166__halfEvPKT_PKiPT0_ll15HIP_vector_typeIjLj3EEmmmmmmmmm: ; @_ZL16k_get_rows_floatI14__hip_bfloat166__halfEvPKT_PKiPT0_ll15HIP_vector_typeIjLj3EEmmmmmmmmm
; %bb.0:
	s_clause 0x1
	s_load_b64 s[4:5], s[0:1], 0x20
	s_load_b64 s[34:35], s[0:1], 0x2c
	s_mov_b32 s2, s15
	s_mov_b32 s3, 0
	s_waitcnt lgkmcnt(0)
	s_mul_i32 s5, s35, s5
	s_mul_hi_u32 s6, s35, s4
	s_mul_i32 s36, s35, s4
	s_add_i32 s37, s6, s5
	s_delay_alu instid0(SALU_CYCLE_1) | instskip(NEXT) | instid1(VALU_DEP_1)
	v_cmp_le_i64_e64 s4, s[36:37], s[2:3]
	s_and_b32 vcc_lo, exec_lo, s4
	s_cbranch_vccnz .LBB23_6
; %bb.1:
	s_clause 0x4
	s_load_b64 s[38:39], s[0:1], 0x88
	s_load_b512 s[16:31], s[0:1], 0x38
	s_load_b256 s[4:11], s[0:1], 0x0
	s_load_b64 s[40:41], s[0:1], 0x78
	s_load_b32 s33, s[0:1], 0x28
	s_add_u32 s42, s0, 0x80
	s_addc_u32 s43, s1, 0
	s_ashr_i32 s1, s13, 31
	s_waitcnt lgkmcnt(0)
	s_and_b32 s39, s39, 0xffff
	s_mul_i32 s12, s13, s29
	s_mul_hi_u32 s15, s13, s28
	s_mul_i32 s29, s1, s28
	s_mul_i32 s45, s16, s1
	s_add_i32 s1, s15, s12
	v_mad_u64_u32 v[1:2], null, s14, s39, v[0:1]
	s_mul_i32 s0, s13, s28
	s_add_i32 s1, s1, s29
	v_mov_b32_e32 v2, 0
	s_lshl_b64 s[0:1], s[0:1], 2
	s_mul_hi_u32 s44, s16, s13
	s_add_u32 s28, s6, s0
	s_mul_i32 s12, s17, s13
	s_addc_u32 s29, s7, s1
	s_add_i32 s1, s44, s45
	s_mul_i32 s0, s16, s13
	s_add_i32 s1, s1, s12
	v_lshlrev_b64 v[3:4], 1, v[1:2]
	s_lshl_b64 s[6:7], s[0:1], 1
	v_cmp_gt_i64_e64 s0, s[10:11], v[1:2]
	s_add_u32 s1, s8, s6
	s_addc_u32 s6, s9, s7
	s_mov_b64 s[8:9], s[2:3]
	v_add_co_u32 v0, vcc_lo, s1, v3
	v_add_co_ci_u32_e32 v5, vcc_lo, s6, v4, vcc_lo
	v_add_co_u32 v6, vcc_lo, s4, v3
	v_add_co_ci_u32_e32 v7, vcc_lo, s5, v4, vcc_lo
	s_lshl_b64 s[4:5], s[18:19], 1
	s_lshl_b64 s[6:7], s[20:21], 1
	s_branch .LBB23_3
.LBB23_2:                               ;   in Loop: Header=BB23_3 Depth=1
	s_set_inst_prefetch_distance 0x2
	s_or_b32 exec_lo, exec_lo, s18
	s_add_u32 s8, s8, s38
	s_addc_u32 s9, s9, 0
	s_delay_alu instid0(SALU_CYCLE_1) | instskip(NEXT) | instid1(VALU_DEP_1)
	v_cmp_lt_i64_e64 s1, s[8:9], s[36:37]
	s_and_b32 vcc_lo, exec_lo, s1
	s_cbranch_vccz .LBB23_6
.LBB23_3:                               ; =>This Loop Header: Depth=1
                                        ;     Child Loop BB23_5 Depth 2
	s_and_saveexec_b32 s18, s0
	s_cbranch_execz .LBB23_2
; %bb.4:                                ;   in Loop: Header=BB23_3 Depth=1
	s_mul_hi_u32 s1, s8, s33
	v_dual_mov_b32 v4, v2 :: v_dual_mov_b32 v3, v1
	s_add_i32 s1, s1, s8
	s_delay_alu instid0(SALU_CYCLE_1) | instskip(NEXT) | instid1(SALU_CYCLE_1)
	s_lshr_b32 s1, s1, s34
	s_mul_i32 s2, s1, s35
	s_mul_i32 s12, s1, s31
	s_mul_hi_u32 s13, s1, s30
	s_ashr_i32 s16, s1, 31
	s_add_i32 s12, s13, s12
	s_mul_i32 s13, s16, s30
	s_sub_i32 s17, s8, s2
	s_add_i32 s13, s12, s13
	s_mul_i32 s2, s17, s41
	s_mul_hi_u32 s12, s17, s40
	s_ashr_i32 s19, s17, 31
	s_add_i32 s2, s12, s2
	s_mul_i32 s12, s1, s30
	s_mul_i32 s14, s19, s40
	s_lshl_b64 s[12:13], s[12:13], 2
	s_add_i32 s15, s2, s14
	s_load_b32 s2, s[42:43], 0x4
	s_mul_i32 s14, s17, s40
	s_add_u32 s20, s28, s12
	s_addc_u32 s21, s29, s13
	s_lshl_b64 s[12:13], s[14:15], 2
	s_mul_i32 s14, s1, s25
	s_mul_hi_u32 s15, s1, s24
	s_add_u32 s12, s20, s12
	s_addc_u32 s13, s21, s13
	s_add_i32 s14, s15, s14
	s_mul_i32 s15, s16, s24
	s_mul_hi_u32 s21, s6, s17
	s_add_i32 s20, s14, s15
	s_mul_i32 s14, s4, s16
	s_mul_hi_u32 s15, s4, s1
	s_mul_i32 s16, s1, s24
	s_add_i32 s14, s15, s14
	s_mul_i32 s15, s5, s1
	s_mul_i32 s1, s4, s1
	s_add_i32 s14, s14, s15
	s_mul_i32 s15, s6, s19
	;; [unrolled: 3-line block ×3, first 2 shown]
	s_waitcnt lgkmcnt(0)
	s_mul_i32 s2, s2, s39
	s_add_i32 s15, s15, s21
	s_add_u32 s1, s1, s44
	s_addc_u32 s14, s14, s15
	v_add_co_u32 v8, vcc_lo, v0, s1
	s_mul_i32 s1, s26, s19
	s_mul_hi_u32 s19, s26, s17
	v_add_co_ci_u32_e32 v9, vcc_lo, s14, v5, vcc_lo
	s_add_i32 s1, s19, s1
	s_mul_i32 s19, s27, s17
	s_mul_i32 s17, s26, s17
	s_lshl_b64 s[14:15], s[2:3], 1
	s_add_i32 s1, s1, s19
	s_add_u32 s16, s16, s17
	s_addc_u32 s1, s20, s1
	v_add_co_u32 v10, vcc_lo, v6, s16
	v_add_co_ci_u32_e32 v11, vcc_lo, s1, v7, vcc_lo
	s_mov_b64 s[16:17], 0
	s_mov_b32 s19, 0
	s_set_inst_prefetch_distance 0x1
	.p2align	6
.LBB23_5:                               ;   Parent Loop BB23_3 Depth=1
                                        ; =>  This Inner Loop Header: Depth=2
	global_load_b32 v12, v2, s[12:13]
	s_waitcnt vmcnt(0)
	v_mul_lo_u32 v13, v12, s23
	v_mul_hi_u32 v14, v12, s22
	v_ashrrev_i32_e32 v15, 31, v12
	v_mul_lo_u32 v12, v12, s22
	s_delay_alu instid0(VALU_DEP_2) | instskip(NEXT) | instid1(VALU_DEP_4)
	v_mul_lo_u32 v15, v15, s22
	v_add_nc_u32_e32 v13, v14, v13
	s_delay_alu instid0(VALU_DEP_3) | instskip(NEXT) | instid1(VALU_DEP_2)
	v_add_co_u32 v12, vcc_lo, s16, v12
	v_add_nc_u32_e32 v13, v13, v15
	s_delay_alu instid0(VALU_DEP_1) | instskip(NEXT) | instid1(VALU_DEP_3)
	v_add_co_ci_u32_e32 v13, vcc_lo, s17, v13, vcc_lo
	v_add_co_u32 v12, vcc_lo, v10, v12
	s_delay_alu instid0(VALU_DEP_2)
	v_add_co_ci_u32_e32 v13, vcc_lo, v11, v13, vcc_lo
	v_add_co_u32 v3, vcc_lo, v3, s2
	v_add_co_ci_u32_e32 v4, vcc_lo, 0, v4, vcc_lo
	global_load_u16 v12, v[12:13], off
	v_cmp_le_i64_e64 s1, s[10:11], v[3:4]
	s_waitcnt vmcnt(0)
	v_lshlrev_b32_e32 v14, 16, v12
	v_add_co_u32 v12, vcc_lo, v8, s16
	v_add_co_ci_u32_e32 v13, vcc_lo, s17, v9, vcc_lo
	s_delay_alu instid0(VALU_DEP_3)
	v_cvt_f16_f32_e32 v14, v14
	s_add_u32 s16, s16, s14
	s_addc_u32 s17, s17, s15
	s_or_b32 s19, s1, s19
	global_store_b16 v[12:13], v14, off
	s_and_not1_b32 exec_lo, exec_lo, s19
	s_cbranch_execnz .LBB23_5
	s_branch .LBB23_2
.LBB23_6:
	s_nop 0
	s_sendmsg sendmsg(MSG_DEALLOC_VGPRS)
	s_endpgm
	.section	.rodata,"a",@progbits
	.p2align	6, 0x0
	.amdhsa_kernel _ZL16k_get_rows_floatI14__hip_bfloat166__halfEvPKT_PKiPT0_ll15HIP_vector_typeIjLj3EEmmmmmmmmm
		.amdhsa_group_segment_fixed_size 0
		.amdhsa_private_segment_fixed_size 0
		.amdhsa_kernarg_size 384
		.amdhsa_user_sgpr_count 13
		.amdhsa_user_sgpr_dispatch_ptr 0
		.amdhsa_user_sgpr_queue_ptr 0
		.amdhsa_user_sgpr_kernarg_segment_ptr 1
		.amdhsa_user_sgpr_dispatch_id 0
		.amdhsa_user_sgpr_private_segment_size 0
		.amdhsa_wavefront_size32 1
		.amdhsa_uses_dynamic_stack 0
		.amdhsa_enable_private_segment 0
		.amdhsa_system_sgpr_workgroup_id_x 1
		.amdhsa_system_sgpr_workgroup_id_y 1
		.amdhsa_system_sgpr_workgroup_id_z 1
		.amdhsa_system_sgpr_workgroup_info 0
		.amdhsa_system_vgpr_workitem_id 0
		.amdhsa_next_free_vgpr 16
		.amdhsa_next_free_sgpr 46
		.amdhsa_reserve_vcc 1
		.amdhsa_float_round_mode_32 0
		.amdhsa_float_round_mode_16_64 0
		.amdhsa_float_denorm_mode_32 3
		.amdhsa_float_denorm_mode_16_64 3
		.amdhsa_dx10_clamp 1
		.amdhsa_ieee_mode 1
		.amdhsa_fp16_overflow 0
		.amdhsa_workgroup_processor_mode 1
		.amdhsa_memory_ordered 1
		.amdhsa_forward_progress 0
		.amdhsa_shared_vgpr_count 0
		.amdhsa_exception_fp_ieee_invalid_op 0
		.amdhsa_exception_fp_denorm_src 0
		.amdhsa_exception_fp_ieee_div_zero 0
		.amdhsa_exception_fp_ieee_overflow 0
		.amdhsa_exception_fp_ieee_underflow 0
		.amdhsa_exception_fp_ieee_inexact 0
		.amdhsa_exception_int_div_zero 0
	.end_amdhsa_kernel
	.section	.text._ZL16k_get_rows_floatI14__hip_bfloat166__halfEvPKT_PKiPT0_ll15HIP_vector_typeIjLj3EEmmmmmmmmm,"axG",@progbits,_ZL16k_get_rows_floatI14__hip_bfloat166__halfEvPKT_PKiPT0_ll15HIP_vector_typeIjLj3EEmmmmmmmmm,comdat
.Lfunc_end23:
	.size	_ZL16k_get_rows_floatI14__hip_bfloat166__halfEvPKT_PKiPT0_ll15HIP_vector_typeIjLj3EEmmmmmmmmm, .Lfunc_end23-_ZL16k_get_rows_floatI14__hip_bfloat166__halfEvPKT_PKiPT0_ll15HIP_vector_typeIjLj3EEmmmmmmmmm
                                        ; -- End function
	.section	.AMDGPU.csdata,"",@progbits
; Kernel info:
; codeLenInByte = 800
; NumSgprs: 48
; NumVgprs: 16
; ScratchSize: 0
; MemoryBound: 0
; FloatMode: 240
; IeeeMode: 1
; LDSByteSize: 0 bytes/workgroup (compile time only)
; SGPRBlocks: 5
; VGPRBlocks: 1
; NumSGPRsForWavesPerEU: 48
; NumVGPRsForWavesPerEU: 16
; Occupancy: 16
; WaveLimiterHint : 1
; COMPUTE_PGM_RSRC2:SCRATCH_EN: 0
; COMPUTE_PGM_RSRC2:USER_SGPR: 13
; COMPUTE_PGM_RSRC2:TRAP_HANDLER: 0
; COMPUTE_PGM_RSRC2:TGID_X_EN: 1
; COMPUTE_PGM_RSRC2:TGID_Y_EN: 1
; COMPUTE_PGM_RSRC2:TGID_Z_EN: 1
; COMPUTE_PGM_RSRC2:TIDIG_COMP_CNT: 0
	.section	.text._ZL10k_get_rowsILi128ELi1EXadL_ZL15dequantize_q1_0PKvliR15HIP_vector_typeIfLj2EEEE6__halfEvS1_PKiPT2_llS2_IjLj3EEmmmmmmmmm,"axG",@progbits,_ZL10k_get_rowsILi128ELi1EXadL_ZL15dequantize_q1_0PKvliR15HIP_vector_typeIfLj2EEEE6__halfEvS1_PKiPT2_llS2_IjLj3EEmmmmmmmmm,comdat
	.globl	_ZL10k_get_rowsILi128ELi1EXadL_ZL15dequantize_q1_0PKvliR15HIP_vector_typeIfLj2EEEE6__halfEvS1_PKiPT2_llS2_IjLj3EEmmmmmmmmm ; -- Begin function _ZL10k_get_rowsILi128ELi1EXadL_ZL15dequantize_q1_0PKvliR15HIP_vector_typeIfLj2EEEE6__halfEvS1_PKiPT2_llS2_IjLj3EEmmmmmmmmm
	.p2align	8
	.type	_ZL10k_get_rowsILi128ELi1EXadL_ZL15dequantize_q1_0PKvliR15HIP_vector_typeIfLj2EEEE6__halfEvS1_PKiPT2_llS2_IjLj3EEmmmmmmmmm,@function
_ZL10k_get_rowsILi128ELi1EXadL_ZL15dequantize_q1_0PKvliR15HIP_vector_typeIfLj2EEEE6__halfEvS1_PKiPT2_llS2_IjLj3EEmmmmmmmmm: ; @_ZL10k_get_rowsILi128ELi1EXadL_ZL15dequantize_q1_0PKvliR15HIP_vector_typeIfLj2EEEE6__halfEvS1_PKiPT2_llS2_IjLj3EEmmmmmmmmm
; %bb.0:
	s_clause 0x1
	s_load_b128 s[4:7], s[0:1], 0x18
	s_load_b64 s[36:37], s[0:1], 0x2c
	s_mov_b32 s34, s15
	s_mov_b32 s35, 0
	s_waitcnt lgkmcnt(0)
	s_mul_i32 s2, s37, s7
	s_mul_hi_u32 s3, s37, s6
	s_mul_i32 s6, s37, s6
	s_add_i32 s7, s3, s2
	s_delay_alu instid0(SALU_CYCLE_1) | instskip(NEXT) | instid1(VALU_DEP_1)
	v_cmp_le_i64_e64 s2, s[6:7], s[34:35]
	s_and_b32 vcc_lo, exec_lo, s2
	s_cbranch_vccnz .LBB24_6
; %bb.1:
	s_clause 0x5
	s_load_b64 s[38:39], s[0:1], 0x88
	s_load_b512 s[16:31], s[0:1], 0x38
	s_load_b64 s[40:41], s[0:1], 0x78
	s_load_b128 s[8:11], s[0:1], 0x0
	s_load_b64 s[44:45], s[0:1], 0x10
	s_load_b32 s3, s[0:1], 0x28
	s_add_u32 s42, s0, 0x80
	s_addc_u32 s43, s1, 0
	s_ashr_i32 s1, s13, 31
	v_mov_b32_e32 v1, 0
	s_waitcnt lgkmcnt(0)
	s_and_b32 s33, s39, 0xffff
	s_mul_i32 s2, s13, s29
	s_mul_hi_u32 s12, s13, s28
	s_mul_i32 s15, s1, s28
	s_mul_i32 s39, s1, s16
	s_add_i32 s1, s12, s2
	s_mul_i32 s0, s13, s28
	s_add_i32 s1, s1, s15
	s_mul_i32 s14, s14, s33
	s_lshl_b64 s[0:1], s[0:1], 2
	s_mul_i32 s28, s13, s17
	s_mul_hi_u32 s29, s13, s16
	v_add_lshl_u32 v0, s14, v0, 1
	s_mul_i32 s12, s13, s16
	s_add_u32 s16, s10, s0
	s_addc_u32 s17, s11, s1
	s_add_i32 s1, s29, s28
	v_cmp_gt_i64_e64 s0, s[4:5], v[0:1]
	s_add_i32 s13, s1, s39
	v_lshlrev_b64 v[4:5], 25, v[0:1]
	v_dual_mov_b32 v2, v1 :: v_dual_mov_b32 v3, v0
	s_lshl_b64 s[10:11], s[12:13], 1
	s_delay_alu instid0(SALU_CYCLE_1)
	s_add_u32 s28, s44, s10
	s_addc_u32 s29, s45, s11
	s_mov_b64 s[10:11], s[34:35]
	s_branch .LBB24_3
.LBB24_2:                               ;   in Loop: Header=BB24_3 Depth=1
	s_or_b32 exec_lo, exec_lo, s39
	s_add_u32 s10, s10, s38
	s_addc_u32 s11, s11, 0
	s_delay_alu instid0(SALU_CYCLE_1) | instskip(NEXT) | instid1(VALU_DEP_1)
	v_cmp_ge_i64_e64 s1, s[10:11], s[6:7]
	s_and_b32 vcc_lo, exec_lo, s1
	s_cbranch_vccnz .LBB24_6
.LBB24_3:                               ; =>This Loop Header: Depth=1
                                        ;     Child Loop BB24_5 Depth 2
	s_and_saveexec_b32 s39, s0
	s_cbranch_execz .LBB24_2
; %bb.4:                                ;   in Loop: Header=BB24_3 Depth=1
	s_mul_hi_u32 s1, s10, s3
	v_dual_mov_b32 v7, v3 :: v_dual_mov_b32 v6, v2
	s_add_i32 s1, s1, s10
	v_dual_mov_b32 v9, v5 :: v_dual_mov_b32 v8, v4
	s_lshr_b32 s1, s1, s36
	v_dual_mov_b32 v11, v1 :: v_dual_mov_b32 v10, v0
	s_mul_i32 s2, s1, s37
	s_mul_i32 s12, s1, s31
	s_mul_hi_u32 s13, s1, s30
	s_ashr_i32 s34, s1, 31
	s_add_i32 s12, s13, s12
	s_mul_i32 s13, s34, s30
	s_sub_i32 s2, s10, s2
	s_add_i32 s13, s12, s13
	s_mul_i32 s12, s2, s41
	s_mul_hi_u32 s14, s2, s40
	s_ashr_i32 s46, s2, 31
	s_add_i32 s14, s14, s12
	s_mul_i32 s12, s1, s30
	s_mul_i32 s15, s46, s40
	s_lshl_b64 s[12:13], s[12:13], 2
	s_add_i32 s15, s14, s15
	s_mul_i32 s14, s2, s40
	s_add_u32 s44, s16, s12
	s_addc_u32 s45, s17, s13
	s_lshl_b64 s[12:13], s[14:15], 2
	s_mul_hi_u32 s14, s1, s18
	s_add_u32 s12, s44, s12
	s_addc_u32 s13, s45, s13
	s_load_b32 s47, s[12:13], 0x0
	s_load_b32 s48, s[42:43], 0x4
	s_mul_i32 s13, s1, s19
	s_mul_i32 s15, s34, s18
	s_add_i32 s13, s14, s13
	s_mul_i32 s12, s1, s18
	s_add_i32 s13, s13, s15
	s_mul_i32 s44, s2, s21
	s_lshl_b64 s[12:13], s[12:13], 1
	s_mul_hi_u32 s45, s2, s20
	s_mul_i32 s15, s46, s20
	s_mul_i32 s14, s2, s20
	;; [unrolled: 1-line block ×5, first 2 shown]
	s_waitcnt lgkmcnt(0)
	s_ashr_i32 s50, s47, 31
	s_add_u32 s51, s28, s12
	s_addc_u32 s52, s29, s13
	s_add_i32 s12, s45, s44
	s_mul_i32 s53, s47, s23
	s_add_i32 s15, s12, s15
	s_mul_hi_u32 s54, s47, s22
	s_lshl_b64 s[12:13], s[14:15], 1
	s_mul_i32 s50, s50, s22
	s_add_u32 s44, s51, s12
	s_addc_u32 s45, s52, s13
	s_add_i32 s12, s54, s53
	s_mul_i32 s47, s47, s22
	s_add_i32 s12, s12, s50
	s_mul_hi_u32 s14, s1, s24
	s_add_u32 s13, s8, s47
	s_addc_u32 s12, s9, s12
	s_add_i32 s14, s14, s49
	s_mul_i32 s1, s1, s24
	s_add_i32 s14, s14, s34
	s_add_u32 s1, s13, s1
	s_mul_i32 s13, s2, s27
	s_mul_hi_u32 s15, s2, s26
	s_addc_u32 s14, s12, s14
	s_add_i32 s12, s15, s13
	s_mul_i32 s2, s2, s26
	s_add_i32 s13, s12, s46
	s_mul_i32 s34, s48, s33
	s_add_u32 s12, s1, s2
	s_addc_u32 s13, s14, s13
	s_lshl_b64 s[14:15], s[34:35], 25
	s_mov_b32 s46, 0
	s_mov_b32 s47, s34
.LBB24_5:                               ;   Parent Loop BB24_3 Depth=1
                                        ; =>  This Inner Loop Header: Depth=2
	v_mad_i64_i32 v[12:13], null, v9, 18, s[12:13]
	v_and_b32_e32 v14, 0x7f, v10
	v_bfe_u32 v15, v10, 3, 4
	s_delay_alu instid0(VALU_DEP_2) | instskip(NEXT) | instid1(VALU_DEP_2)
	v_add_nc_u32_e32 v16, 1, v14
	v_add_co_u32 v14, vcc_lo, v12, v15
	v_add_co_ci_u32_e32 v15, vcc_lo, 0, v13, vcc_lo
	s_delay_alu instid0(VALU_DEP_3)
	v_lshrrev_b32_e32 v18, 3, v16
	global_load_u16 v17, v[12:13], off
	v_and_b32_e32 v16, 7, v16
	global_load_u8 v14, v[14:15], off offset:2
	v_add_co_u32 v12, vcc_lo, v12, v18
	v_add_co_ci_u32_e32 v13, vcc_lo, 0, v13, vcc_lo
	v_and_b32_e32 v18, 7, v10
	v_add_co_u32 v10, vcc_lo, v10, s34
	global_load_u8 v15, v[12:13], off offset:2
	v_ashrrev_i64 v[12:13], 31, v[6:7]
	v_add_co_ci_u32_e32 v11, vcc_lo, 0, v11, vcc_lo
	v_add_co_u32 v8, vcc_lo, v8, s14
	v_add_co_ci_u32_e32 v9, vcc_lo, s15, v9, vcc_lo
	s_delay_alu instid0(VALU_DEP_3) | instskip(SKIP_2) | instid1(VALU_DEP_1)
	v_cmp_le_i64_e64 s1, s[4:5], v[10:11]
	v_add_co_u32 v6, vcc_lo, v6, 0
	v_add_co_u32 v12, s2, s44, v12
	v_add_co_ci_u32_e64 v13, s2, s45, v13, s2
	v_add_co_ci_u32_e32 v7, vcc_lo, s47, v7, vcc_lo
	s_or_b32 s46, s1, s46
	s_waitcnt vmcnt(1)
	v_lshrrev_b32_e32 v14, v18, v14
	s_delay_alu instid0(VALU_DEP_1) | instskip(SKIP_2) | instid1(VALU_DEP_2)
	v_lshlrev_b32_e32 v14, 1, v14
	s_waitcnt vmcnt(0)
	v_lshrrev_b32_e32 v15, v16, v15
	v_and_b32_e32 v14, 2, v14
	s_delay_alu instid0(VALU_DEP_2) | instskip(NEXT) | instid1(VALU_DEP_2)
	v_lshlrev_b32_e32 v15, 1, v15
	v_add_nc_u32_e32 v14, -1, v14
	s_delay_alu instid0(VALU_DEP_2) | instskip(NEXT) | instid1(VALU_DEP_2)
	v_and_b32_e32 v15, 2, v15
	v_cvt_f32_i32_e32 v14, v14
	s_delay_alu instid0(VALU_DEP_2) | instskip(NEXT) | instid1(VALU_DEP_2)
	v_add_nc_u32_e32 v15, -1, v15
	v_fma_mixlo_f16 v14, v17, v14, 0 op_sel_hi:[1,0,0]
	s_delay_alu instid0(VALU_DEP_2) | instskip(NEXT) | instid1(VALU_DEP_1)
	v_cvt_f32_i32_e32 v15, v15
	v_fma_mixhi_f16 v14, v17, v15, 0 op_sel_hi:[1,0,0]
	global_store_b32 v[12:13], v14, off
	s_and_not1_b32 exec_lo, exec_lo, s46
	s_cbranch_execnz .LBB24_5
	s_branch .LBB24_2
.LBB24_6:
	s_nop 0
	s_sendmsg sendmsg(MSG_DEALLOC_VGPRS)
	s_endpgm
	.section	.rodata,"a",@progbits
	.p2align	6, 0x0
	.amdhsa_kernel _ZL10k_get_rowsILi128ELi1EXadL_ZL15dequantize_q1_0PKvliR15HIP_vector_typeIfLj2EEEE6__halfEvS1_PKiPT2_llS2_IjLj3EEmmmmmmmmm
		.amdhsa_group_segment_fixed_size 0
		.amdhsa_private_segment_fixed_size 0
		.amdhsa_kernarg_size 384
		.amdhsa_user_sgpr_count 13
		.amdhsa_user_sgpr_dispatch_ptr 0
		.amdhsa_user_sgpr_queue_ptr 0
		.amdhsa_user_sgpr_kernarg_segment_ptr 1
		.amdhsa_user_sgpr_dispatch_id 0
		.amdhsa_user_sgpr_private_segment_size 0
		.amdhsa_wavefront_size32 1
		.amdhsa_uses_dynamic_stack 0
		.amdhsa_enable_private_segment 0
		.amdhsa_system_sgpr_workgroup_id_x 1
		.amdhsa_system_sgpr_workgroup_id_y 1
		.amdhsa_system_sgpr_workgroup_id_z 1
		.amdhsa_system_sgpr_workgroup_info 0
		.amdhsa_system_vgpr_workitem_id 0
		.amdhsa_next_free_vgpr 19
		.amdhsa_next_free_sgpr 55
		.amdhsa_reserve_vcc 1
		.amdhsa_float_round_mode_32 0
		.amdhsa_float_round_mode_16_64 0
		.amdhsa_float_denorm_mode_32 3
		.amdhsa_float_denorm_mode_16_64 3
		.amdhsa_dx10_clamp 1
		.amdhsa_ieee_mode 1
		.amdhsa_fp16_overflow 0
		.amdhsa_workgroup_processor_mode 1
		.amdhsa_memory_ordered 1
		.amdhsa_forward_progress 0
		.amdhsa_shared_vgpr_count 0
		.amdhsa_exception_fp_ieee_invalid_op 0
		.amdhsa_exception_fp_denorm_src 0
		.amdhsa_exception_fp_ieee_div_zero 0
		.amdhsa_exception_fp_ieee_overflow 0
		.amdhsa_exception_fp_ieee_underflow 0
		.amdhsa_exception_fp_ieee_inexact 0
		.amdhsa_exception_int_div_zero 0
	.end_amdhsa_kernel
	.section	.text._ZL10k_get_rowsILi128ELi1EXadL_ZL15dequantize_q1_0PKvliR15HIP_vector_typeIfLj2EEEE6__halfEvS1_PKiPT2_llS2_IjLj3EEmmmmmmmmm,"axG",@progbits,_ZL10k_get_rowsILi128ELi1EXadL_ZL15dequantize_q1_0PKvliR15HIP_vector_typeIfLj2EEEE6__halfEvS1_PKiPT2_llS2_IjLj3EEmmmmmmmmm,comdat
.Lfunc_end24:
	.size	_ZL10k_get_rowsILi128ELi1EXadL_ZL15dequantize_q1_0PKvliR15HIP_vector_typeIfLj2EEEE6__halfEvS1_PKiPT2_llS2_IjLj3EEmmmmmmmmm, .Lfunc_end24-_ZL10k_get_rowsILi128ELi1EXadL_ZL15dequantize_q1_0PKvliR15HIP_vector_typeIfLj2EEEE6__halfEvS1_PKiPT2_llS2_IjLj3EEmmmmmmmmm
                                        ; -- End function
	.section	.AMDGPU.csdata,"",@progbits
; Kernel info:
; codeLenInByte = 932
; NumSgprs: 57
; NumVgprs: 19
; ScratchSize: 0
; MemoryBound: 0
; FloatMode: 240
; IeeeMode: 1
; LDSByteSize: 0 bytes/workgroup (compile time only)
; SGPRBlocks: 7
; VGPRBlocks: 2
; NumSGPRsForWavesPerEU: 57
; NumVGPRsForWavesPerEU: 19
; Occupancy: 16
; WaveLimiterHint : 1
; COMPUTE_PGM_RSRC2:SCRATCH_EN: 0
; COMPUTE_PGM_RSRC2:USER_SGPR: 13
; COMPUTE_PGM_RSRC2:TRAP_HANDLER: 0
; COMPUTE_PGM_RSRC2:TGID_X_EN: 1
; COMPUTE_PGM_RSRC2:TGID_Y_EN: 1
; COMPUTE_PGM_RSRC2:TGID_Z_EN: 1
; COMPUTE_PGM_RSRC2:TIDIG_COMP_CNT: 0
	.section	.text._ZL10k_get_rowsILi32ELi2EXadL_ZL15dequantize_q4_0PKvliR15HIP_vector_typeIfLj2EEEE6__halfEvS1_PKiPT2_llS2_IjLj3EEmmmmmmmmm,"axG",@progbits,_ZL10k_get_rowsILi32ELi2EXadL_ZL15dequantize_q4_0PKvliR15HIP_vector_typeIfLj2EEEE6__halfEvS1_PKiPT2_llS2_IjLj3EEmmmmmmmmm,comdat
	.globl	_ZL10k_get_rowsILi32ELi2EXadL_ZL15dequantize_q4_0PKvliR15HIP_vector_typeIfLj2EEEE6__halfEvS1_PKiPT2_llS2_IjLj3EEmmmmmmmmm ; -- Begin function _ZL10k_get_rowsILi32ELi2EXadL_ZL15dequantize_q4_0PKvliR15HIP_vector_typeIfLj2EEEE6__halfEvS1_PKiPT2_llS2_IjLj3EEmmmmmmmmm
	.p2align	8
	.type	_ZL10k_get_rowsILi32ELi2EXadL_ZL15dequantize_q4_0PKvliR15HIP_vector_typeIfLj2EEEE6__halfEvS1_PKiPT2_llS2_IjLj3EEmmmmmmmmm,@function
_ZL10k_get_rowsILi32ELi2EXadL_ZL15dequantize_q4_0PKvliR15HIP_vector_typeIfLj2EEEE6__halfEvS1_PKiPT2_llS2_IjLj3EEmmmmmmmmm: ; @_ZL10k_get_rowsILi32ELi2EXadL_ZL15dequantize_q4_0PKvliR15HIP_vector_typeIfLj2EEEE6__halfEvS1_PKiPT2_llS2_IjLj3EEmmmmmmmmm
; %bb.0:
	s_clause 0x1
	s_load_b128 s[4:7], s[0:1], 0x18
	s_load_b64 s[36:37], s[0:1], 0x2c
	s_mov_b32 s34, s15
	s_mov_b32 s35, 0
	s_waitcnt lgkmcnt(0)
	s_mul_i32 s2, s37, s7
	s_mul_hi_u32 s3, s37, s6
	s_mul_i32 s6, s37, s6
	s_add_i32 s7, s3, s2
	s_delay_alu instid0(SALU_CYCLE_1) | instskip(NEXT) | instid1(VALU_DEP_1)
	v_cmp_le_i64_e64 s2, s[6:7], s[34:35]
	s_and_b32 vcc_lo, exec_lo, s2
	s_cbranch_vccnz .LBB25_6
; %bb.1:
	s_clause 0x5
	s_load_b64 s[38:39], s[0:1], 0x88
	s_load_b512 s[16:31], s[0:1], 0x38
	s_load_b64 s[40:41], s[0:1], 0x78
	s_load_b128 s[8:11], s[0:1], 0x0
	s_load_b64 s[44:45], s[0:1], 0x10
	s_load_b32 s3, s[0:1], 0x28
	s_add_u32 s42, s0, 0x80
	s_addc_u32 s43, s1, 0
	s_ashr_i32 s1, s13, 31
	v_mov_b32_e32 v1, 0
	s_waitcnt lgkmcnt(0)
	s_and_b32 s33, s39, 0xffff
	s_mul_i32 s2, s13, s29
	s_mul_hi_u32 s12, s13, s28
	s_mul_i32 s15, s1, s28
	s_mul_i32 s39, s1, s16
	s_add_i32 s1, s12, s2
	s_mul_i32 s0, s13, s28
	s_add_i32 s1, s1, s15
	s_mul_i32 s14, s14, s33
	s_lshl_b64 s[0:1], s[0:1], 2
	s_mul_i32 s28, s13, s17
	s_mul_hi_u32 s29, s13, s16
	v_add_lshl_u32 v0, s14, v0, 1
	s_mul_i32 s12, s13, s16
	s_add_u32 s16, s10, s0
	s_addc_u32 s17, s11, s1
	s_add_i32 s1, s29, s28
	v_cmp_gt_i64_e64 s0, s[4:5], v[0:1]
	s_add_i32 s13, s1, s39
	v_lshlrev_b64 v[2:3], 27, v[0:1]
	s_lshl_b64 s[10:11], s[12:13], 1
	s_delay_alu instid0(SALU_CYCLE_1)
	s_add_u32 s28, s44, s10
	s_addc_u32 s29, s45, s11
	s_mov_b64 s[10:11], s[34:35]
	s_branch .LBB25_3
.LBB25_2:                               ;   in Loop: Header=BB25_3 Depth=1
	s_set_inst_prefetch_distance 0x2
	s_or_b32 exec_lo, exec_lo, s39
	s_add_u32 s10, s10, s38
	s_addc_u32 s11, s11, 0
	s_delay_alu instid0(SALU_CYCLE_1) | instskip(NEXT) | instid1(VALU_DEP_1)
	v_cmp_ge_i64_e64 s1, s[10:11], s[6:7]
	s_and_b32 vcc_lo, exec_lo, s1
	s_cbranch_vccnz .LBB25_6
.LBB25_3:                               ; =>This Loop Header: Depth=1
                                        ;     Child Loop BB25_5 Depth 2
	s_and_saveexec_b32 s39, s0
	s_cbranch_execz .LBB25_2
; %bb.4:                                ;   in Loop: Header=BB25_3 Depth=1
	s_mul_hi_u32 s1, s10, s3
	v_dual_mov_b32 v5, v3 :: v_dual_mov_b32 v4, v2
	s_add_i32 s1, s1, s10
	v_dual_mov_b32 v7, v1 :: v_dual_mov_b32 v6, v0
	s_lshr_b32 s1, s1, s36
	s_delay_alu instid0(SALU_CYCLE_1)
	s_mul_i32 s2, s1, s37
	s_mul_i32 s12, s1, s31
	s_mul_hi_u32 s13, s1, s30
	s_ashr_i32 s34, s1, 31
	s_add_i32 s12, s13, s12
	s_mul_i32 s13, s34, s30
	s_sub_i32 s2, s10, s2
	s_add_i32 s13, s12, s13
	s_mul_i32 s12, s2, s41
	s_mul_hi_u32 s14, s2, s40
	s_ashr_i32 s46, s2, 31
	s_add_i32 s14, s14, s12
	s_mul_i32 s12, s1, s30
	s_mul_i32 s15, s46, s40
	s_lshl_b64 s[12:13], s[12:13], 2
	s_add_i32 s15, s14, s15
	s_mul_i32 s14, s2, s40
	s_add_u32 s44, s16, s12
	s_addc_u32 s45, s17, s13
	s_lshl_b64 s[12:13], s[14:15], 2
	s_mul_hi_u32 s14, s1, s18
	s_add_u32 s12, s44, s12
	s_addc_u32 s13, s45, s13
	s_load_b32 s47, s[12:13], 0x0
	s_load_b32 s48, s[42:43], 0x4
	s_mul_i32 s13, s1, s19
	s_mul_i32 s15, s34, s18
	s_add_i32 s13, s14, s13
	s_mul_i32 s12, s1, s18
	s_add_i32 s13, s13, s15
	s_mul_i32 s44, s2, s21
	s_lshl_b64 s[12:13], s[12:13], 1
	s_mul_hi_u32 s45, s2, s20
	s_mul_i32 s15, s46, s20
	s_mul_i32 s14, s2, s20
	;; [unrolled: 1-line block ×5, first 2 shown]
	s_waitcnt lgkmcnt(0)
	s_ashr_i32 s50, s47, 31
	s_add_u32 s51, s28, s12
	s_addc_u32 s52, s29, s13
	s_add_i32 s12, s45, s44
	s_mul_i32 s53, s47, s23
	s_add_i32 s15, s12, s15
	s_mul_hi_u32 s54, s47, s22
	s_lshl_b64 s[12:13], s[14:15], 1
	s_mul_i32 s50, s50, s22
	s_add_u32 s44, s51, s12
	s_addc_u32 s45, s52, s13
	s_add_i32 s12, s54, s53
	s_mul_i32 s47, s47, s22
	s_add_i32 s12, s12, s50
	s_mul_hi_u32 s14, s1, s24
	s_add_u32 s13, s8, s47
	s_addc_u32 s12, s9, s12
	s_add_i32 s14, s14, s49
	s_mul_i32 s1, s1, s24
	s_add_i32 s14, s14, s34
	s_add_u32 s1, s13, s1
	s_mul_i32 s13, s2, s27
	s_mul_hi_u32 s15, s2, s26
	s_addc_u32 s14, s12, s14
	s_add_i32 s12, s15, s13
	s_mul_i32 s2, s2, s26
	s_add_i32 s13, s12, s46
	s_mul_i32 s34, s48, s33
	s_add_u32 s12, s1, s2
	s_addc_u32 s13, s14, s13
	s_lshl_b64 s[14:15], s[34:35], 27
	s_mov_b32 s46, 0
	s_set_inst_prefetch_distance 0x1
	.p2align	6
.LBB25_5:                               ;   Parent Loop BB25_3 Depth=1
                                        ; =>  This Inner Loop Header: Depth=2
	v_mad_i64_i32 v[8:9], null, v5, 18, s[12:13]
	v_bfe_u32 v12, v6, 1, 4
	s_delay_alu instid0(VALU_DEP_1) | instskip(NEXT) | instid1(VALU_DEP_3)
	v_add_co_u32 v10, vcc_lo, v8, v12
	v_add_co_ci_u32_e32 v11, vcc_lo, 0, v9, vcc_lo
	v_add_co_u32 v4, vcc_lo, v4, s14
	s_clause 0x1
	global_load_u16 v13, v[8:9], off
	global_load_u8 v10, v[10:11], off offset:2
	v_and_or_b32 v8, 0xffffffe0, v6, v12
	v_add_co_u32 v6, s1, v6, s34
	s_delay_alu instid0(VALU_DEP_1) | instskip(NEXT) | instid1(VALU_DEP_3)
	v_add_co_ci_u32_e64 v7, s1, 0, v7, s1
	v_ashrrev_i32_e32 v9, 31, v8
	v_add_co_ci_u32_e32 v5, vcc_lo, s15, v5, vcc_lo
	s_delay_alu instid0(VALU_DEP_3) | instskip(NEXT) | instid1(VALU_DEP_3)
	v_cmp_le_i64_e64 s1, s[4:5], v[6:7]
	v_lshlrev_b64 v[8:9], 1, v[8:9]
	s_delay_alu instid0(VALU_DEP_2) | instskip(NEXT) | instid1(VALU_DEP_1)
	s_or_b32 s46, s1, s46
	v_add_co_u32 v8, s2, s44, v8
	s_delay_alu instid0(VALU_DEP_1) | instskip(SKIP_3) | instid1(VALU_DEP_2)
	v_add_co_ci_u32_e64 v9, s2, s45, v9, s2
	s_waitcnt vmcnt(0)
	v_and_b32_e32 v11, 15, v10
	v_lshrrev_b32_e32 v10, 4, v10
	v_add_nc_u32_e32 v11, -8, v11
	s_delay_alu instid0(VALU_DEP_2) | instskip(NEXT) | instid1(VALU_DEP_2)
	v_add_nc_u32_e32 v10, -8, v10
	v_cvt_f32_i32_e32 v11, v11
	s_delay_alu instid0(VALU_DEP_2) | instskip(NEXT) | instid1(VALU_DEP_2)
	v_cvt_f32_i32_e32 v10, v10
	v_fma_mixlo_f16 v11, v13, v11, 0 op_sel_hi:[1,0,0]
	s_delay_alu instid0(VALU_DEP_2)
	v_fma_mixlo_f16 v10, v13, v10, 0 op_sel_hi:[1,0,0]
	s_clause 0x1
	global_store_b16 v[8:9], v11, off
	global_store_b16 v[8:9], v10, off offset:32
	s_and_not1_b32 exec_lo, exec_lo, s46
	s_cbranch_execnz .LBB25_5
	s_branch .LBB25_2
.LBB25_6:
	s_nop 0
	s_sendmsg sendmsg(MSG_DEALLOC_VGPRS)
	s_endpgm
	.section	.rodata,"a",@progbits
	.p2align	6, 0x0
	.amdhsa_kernel _ZL10k_get_rowsILi32ELi2EXadL_ZL15dequantize_q4_0PKvliR15HIP_vector_typeIfLj2EEEE6__halfEvS1_PKiPT2_llS2_IjLj3EEmmmmmmmmm
		.amdhsa_group_segment_fixed_size 0
		.amdhsa_private_segment_fixed_size 0
		.amdhsa_kernarg_size 384
		.amdhsa_user_sgpr_count 13
		.amdhsa_user_sgpr_dispatch_ptr 0
		.amdhsa_user_sgpr_queue_ptr 0
		.amdhsa_user_sgpr_kernarg_segment_ptr 1
		.amdhsa_user_sgpr_dispatch_id 0
		.amdhsa_user_sgpr_private_segment_size 0
		.amdhsa_wavefront_size32 1
		.amdhsa_uses_dynamic_stack 0
		.amdhsa_enable_private_segment 0
		.amdhsa_system_sgpr_workgroup_id_x 1
		.amdhsa_system_sgpr_workgroup_id_y 1
		.amdhsa_system_sgpr_workgroup_id_z 1
		.amdhsa_system_sgpr_workgroup_info 0
		.amdhsa_system_vgpr_workitem_id 0
		.amdhsa_next_free_vgpr 14
		.amdhsa_next_free_sgpr 55
		.amdhsa_reserve_vcc 1
		.amdhsa_float_round_mode_32 0
		.amdhsa_float_round_mode_16_64 0
		.amdhsa_float_denorm_mode_32 3
		.amdhsa_float_denorm_mode_16_64 3
		.amdhsa_dx10_clamp 1
		.amdhsa_ieee_mode 1
		.amdhsa_fp16_overflow 0
		.amdhsa_workgroup_processor_mode 1
		.amdhsa_memory_ordered 1
		.amdhsa_forward_progress 0
		.amdhsa_shared_vgpr_count 0
		.amdhsa_exception_fp_ieee_invalid_op 0
		.amdhsa_exception_fp_denorm_src 0
		.amdhsa_exception_fp_ieee_div_zero 0
		.amdhsa_exception_fp_ieee_overflow 0
		.amdhsa_exception_fp_ieee_underflow 0
		.amdhsa_exception_fp_ieee_inexact 0
		.amdhsa_exception_int_div_zero 0
	.end_amdhsa_kernel
	.section	.text._ZL10k_get_rowsILi32ELi2EXadL_ZL15dequantize_q4_0PKvliR15HIP_vector_typeIfLj2EEEE6__halfEvS1_PKiPT2_llS2_IjLj3EEmmmmmmmmm,"axG",@progbits,_ZL10k_get_rowsILi32ELi2EXadL_ZL15dequantize_q4_0PKvliR15HIP_vector_typeIfLj2EEEE6__halfEvS1_PKiPT2_llS2_IjLj3EEmmmmmmmmm,comdat
.Lfunc_end25:
	.size	_ZL10k_get_rowsILi32ELi2EXadL_ZL15dequantize_q4_0PKvliR15HIP_vector_typeIfLj2EEEE6__halfEvS1_PKiPT2_llS2_IjLj3EEmmmmmmmmm, .Lfunc_end25-_ZL10k_get_rowsILi32ELi2EXadL_ZL15dequantize_q4_0PKvliR15HIP_vector_typeIfLj2EEEE6__halfEvS1_PKiPT2_llS2_IjLj3EEmmmmmmmmm
                                        ; -- End function
	.section	.AMDGPU.csdata,"",@progbits
; Kernel info:
; codeLenInByte = 884
; NumSgprs: 57
; NumVgprs: 14
; ScratchSize: 0
; MemoryBound: 0
; FloatMode: 240
; IeeeMode: 1
; LDSByteSize: 0 bytes/workgroup (compile time only)
; SGPRBlocks: 7
; VGPRBlocks: 1
; NumSGPRsForWavesPerEU: 57
; NumVGPRsForWavesPerEU: 14
; Occupancy: 16
; WaveLimiterHint : 1
; COMPUTE_PGM_RSRC2:SCRATCH_EN: 0
; COMPUTE_PGM_RSRC2:USER_SGPR: 13
; COMPUTE_PGM_RSRC2:TRAP_HANDLER: 0
; COMPUTE_PGM_RSRC2:TGID_X_EN: 1
; COMPUTE_PGM_RSRC2:TGID_Y_EN: 1
; COMPUTE_PGM_RSRC2:TGID_Z_EN: 1
; COMPUTE_PGM_RSRC2:TIDIG_COMP_CNT: 0
	.section	.text._ZL10k_get_rowsILi32ELi2EXadL_ZL15dequantize_q4_1PKvliR15HIP_vector_typeIfLj2EEEE6__halfEvS1_PKiPT2_llS2_IjLj3EEmmmmmmmmm,"axG",@progbits,_ZL10k_get_rowsILi32ELi2EXadL_ZL15dequantize_q4_1PKvliR15HIP_vector_typeIfLj2EEEE6__halfEvS1_PKiPT2_llS2_IjLj3EEmmmmmmmmm,comdat
	.globl	_ZL10k_get_rowsILi32ELi2EXadL_ZL15dequantize_q4_1PKvliR15HIP_vector_typeIfLj2EEEE6__halfEvS1_PKiPT2_llS2_IjLj3EEmmmmmmmmm ; -- Begin function _ZL10k_get_rowsILi32ELi2EXadL_ZL15dequantize_q4_1PKvliR15HIP_vector_typeIfLj2EEEE6__halfEvS1_PKiPT2_llS2_IjLj3EEmmmmmmmmm
	.p2align	8
	.type	_ZL10k_get_rowsILi32ELi2EXadL_ZL15dequantize_q4_1PKvliR15HIP_vector_typeIfLj2EEEE6__halfEvS1_PKiPT2_llS2_IjLj3EEmmmmmmmmm,@function
_ZL10k_get_rowsILi32ELi2EXadL_ZL15dequantize_q4_1PKvliR15HIP_vector_typeIfLj2EEEE6__halfEvS1_PKiPT2_llS2_IjLj3EEmmmmmmmmm: ; @_ZL10k_get_rowsILi32ELi2EXadL_ZL15dequantize_q4_1PKvliR15HIP_vector_typeIfLj2EEEE6__halfEvS1_PKiPT2_llS2_IjLj3EEmmmmmmmmm
; %bb.0:
	s_clause 0x1
	s_load_b128 s[4:7], s[0:1], 0x18
	s_load_b64 s[36:37], s[0:1], 0x2c
	s_mov_b32 s34, s15
	s_mov_b32 s35, 0
	s_waitcnt lgkmcnt(0)
	s_mul_i32 s2, s37, s7
	s_mul_hi_u32 s3, s37, s6
	s_mul_i32 s6, s37, s6
	s_add_i32 s7, s3, s2
	s_delay_alu instid0(SALU_CYCLE_1) | instskip(NEXT) | instid1(VALU_DEP_1)
	v_cmp_le_i64_e64 s2, s[6:7], s[34:35]
	s_and_b32 vcc_lo, exec_lo, s2
	s_cbranch_vccnz .LBB26_6
; %bb.1:
	s_clause 0x5
	s_load_b64 s[38:39], s[0:1], 0x88
	s_load_b512 s[16:31], s[0:1], 0x38
	s_load_b64 s[40:41], s[0:1], 0x78
	s_load_b128 s[8:11], s[0:1], 0x0
	s_load_b64 s[44:45], s[0:1], 0x10
	s_load_b32 s3, s[0:1], 0x28
	s_add_u32 s42, s0, 0x80
	s_addc_u32 s43, s1, 0
	s_ashr_i32 s1, s13, 31
	v_mov_b32_e32 v1, 0
	s_waitcnt lgkmcnt(0)
	s_and_b32 s33, s39, 0xffff
	s_mul_i32 s2, s13, s29
	s_mul_hi_u32 s12, s13, s28
	s_mul_i32 s15, s1, s28
	s_mul_i32 s39, s1, s16
	s_add_i32 s1, s12, s2
	s_mul_i32 s0, s13, s28
	s_add_i32 s1, s1, s15
	s_mul_i32 s14, s14, s33
	s_lshl_b64 s[0:1], s[0:1], 2
	s_mul_i32 s28, s13, s17
	s_mul_hi_u32 s29, s13, s16
	v_add_lshl_u32 v0, s14, v0, 1
	s_mul_i32 s12, s13, s16
	s_add_u32 s16, s10, s0
	s_addc_u32 s17, s11, s1
	s_add_i32 s1, s29, s28
	v_cmp_gt_i64_e64 s0, s[4:5], v[0:1]
	s_add_i32 s13, s1, s39
	v_lshlrev_b64 v[2:3], 27, v[0:1]
	s_lshl_b64 s[10:11], s[12:13], 1
	s_delay_alu instid0(SALU_CYCLE_1)
	s_add_u32 s28, s44, s10
	s_addc_u32 s29, s45, s11
	s_mov_b64 s[10:11], s[34:35]
	s_branch .LBB26_3
.LBB26_2:                               ;   in Loop: Header=BB26_3 Depth=1
	s_set_inst_prefetch_distance 0x2
	s_or_b32 exec_lo, exec_lo, s39
	s_add_u32 s10, s10, s38
	s_addc_u32 s11, s11, 0
	s_delay_alu instid0(SALU_CYCLE_1) | instskip(NEXT) | instid1(VALU_DEP_1)
	v_cmp_ge_i64_e64 s1, s[10:11], s[6:7]
	s_and_b32 vcc_lo, exec_lo, s1
	s_cbranch_vccnz .LBB26_6
.LBB26_3:                               ; =>This Loop Header: Depth=1
                                        ;     Child Loop BB26_5 Depth 2
	s_and_saveexec_b32 s39, s0
	s_cbranch_execz .LBB26_2
; %bb.4:                                ;   in Loop: Header=BB26_3 Depth=1
	s_mul_hi_u32 s1, s10, s3
	v_dual_mov_b32 v5, v3 :: v_dual_mov_b32 v4, v2
	s_add_i32 s1, s1, s10
	v_dual_mov_b32 v7, v1 :: v_dual_mov_b32 v6, v0
	s_lshr_b32 s1, s1, s36
	s_delay_alu instid0(SALU_CYCLE_1)
	s_mul_i32 s2, s1, s37
	s_mul_i32 s12, s1, s31
	s_mul_hi_u32 s13, s1, s30
	s_ashr_i32 s34, s1, 31
	s_add_i32 s12, s13, s12
	s_mul_i32 s13, s34, s30
	s_sub_i32 s2, s10, s2
	s_add_i32 s13, s12, s13
	s_mul_i32 s12, s2, s41
	s_mul_hi_u32 s14, s2, s40
	s_ashr_i32 s46, s2, 31
	s_add_i32 s14, s14, s12
	s_mul_i32 s12, s1, s30
	s_mul_i32 s15, s46, s40
	s_lshl_b64 s[12:13], s[12:13], 2
	s_add_i32 s15, s14, s15
	s_mul_i32 s14, s2, s40
	s_add_u32 s44, s16, s12
	s_addc_u32 s45, s17, s13
	s_lshl_b64 s[12:13], s[14:15], 2
	s_mul_hi_u32 s14, s1, s18
	s_add_u32 s12, s44, s12
	s_addc_u32 s13, s45, s13
	s_load_b32 s47, s[12:13], 0x0
	s_load_b32 s48, s[42:43], 0x4
	s_mul_i32 s13, s1, s19
	s_mul_i32 s15, s34, s18
	s_add_i32 s13, s14, s13
	s_mul_i32 s12, s1, s18
	s_add_i32 s13, s13, s15
	s_mul_i32 s44, s2, s21
	s_lshl_b64 s[12:13], s[12:13], 1
	s_mul_hi_u32 s45, s2, s20
	s_mul_i32 s15, s46, s20
	s_mul_i32 s14, s2, s20
	;; [unrolled: 1-line block ×5, first 2 shown]
	s_waitcnt lgkmcnt(0)
	s_ashr_i32 s50, s47, 31
	s_add_u32 s51, s28, s12
	s_addc_u32 s52, s29, s13
	s_add_i32 s12, s45, s44
	s_mul_i32 s53, s47, s23
	s_add_i32 s15, s12, s15
	s_mul_hi_u32 s54, s47, s22
	s_lshl_b64 s[12:13], s[14:15], 1
	s_mul_i32 s50, s50, s22
	s_add_u32 s44, s51, s12
	s_addc_u32 s45, s52, s13
	s_add_i32 s12, s54, s53
	s_mul_i32 s47, s47, s22
	s_add_i32 s12, s12, s50
	s_mul_hi_u32 s14, s1, s24
	s_add_u32 s13, s8, s47
	s_addc_u32 s12, s9, s12
	s_add_i32 s14, s14, s49
	s_mul_i32 s1, s1, s24
	s_add_i32 s14, s14, s34
	s_add_u32 s1, s13, s1
	s_mul_i32 s13, s2, s27
	s_mul_hi_u32 s15, s2, s26
	s_addc_u32 s14, s12, s14
	s_add_i32 s12, s15, s13
	s_mul_i32 s2, s2, s26
	s_add_i32 s13, s12, s46
	s_mul_i32 s34, s48, s33
	s_add_u32 s12, s1, s2
	s_addc_u32 s13, s14, s13
	s_lshl_b64 s[14:15], s[34:35], 27
	s_mov_b32 s46, 0
	s_set_inst_prefetch_distance 0x1
	.p2align	6
.LBB26_5:                               ;   Parent Loop BB26_3 Depth=1
                                        ; =>  This Inner Loop Header: Depth=2
	v_mad_i64_i32 v[8:9], null, v5, 20, s[12:13]
	v_bfe_u32 v12, v6, 1, 4
	s_delay_alu instid0(VALU_DEP_1) | instskip(NEXT) | instid1(VALU_DEP_3)
	v_add_co_u32 v10, vcc_lo, v8, v12
	v_add_co_ci_u32_e32 v11, vcc_lo, 0, v9, vcc_lo
	v_add_co_u32 v4, vcc_lo, v4, s14
	s_clause 0x1
	global_load_b32 v13, v[8:9], off
	global_load_u8 v10, v[10:11], off offset:4
	v_and_or_b32 v8, 0xffffffe0, v6, v12
	v_add_co_u32 v6, s1, v6, s34
	s_delay_alu instid0(VALU_DEP_1) | instskip(NEXT) | instid1(VALU_DEP_3)
	v_add_co_ci_u32_e64 v7, s1, 0, v7, s1
	v_ashrrev_i32_e32 v9, 31, v8
	v_add_co_ci_u32_e32 v5, vcc_lo, s15, v5, vcc_lo
	s_delay_alu instid0(VALU_DEP_3) | instskip(NEXT) | instid1(VALU_DEP_3)
	v_cmp_le_i64_e64 s1, s[4:5], v[6:7]
	v_lshlrev_b64 v[8:9], 1, v[8:9]
	s_delay_alu instid0(VALU_DEP_2) | instskip(NEXT) | instid1(VALU_DEP_1)
	s_or_b32 s46, s1, s46
	v_add_co_u32 v8, s2, s44, v8
	s_delay_alu instid0(VALU_DEP_1) | instskip(SKIP_3) | instid1(VALU_DEP_2)
	v_add_co_ci_u32_e64 v9, s2, s45, v9, s2
	s_waitcnt vmcnt(0)
	v_and_b32_e32 v11, 15, v10
	v_lshrrev_b32_e32 v10, 4, v10
	v_cvt_f32_ubyte0_e32 v11, v11
	s_delay_alu instid0(VALU_DEP_2) | instskip(NEXT) | instid1(VALU_DEP_2)
	v_cvt_f32_ubyte0_e32 v10, v10
	v_fma_mixlo_f16 v11, v13, v11, v13 op_sel:[0,0,1] op_sel_hi:[1,0,1]
	s_delay_alu instid0(VALU_DEP_2)
	v_fma_mixlo_f16 v10, v13, v10, v13 op_sel:[0,0,1] op_sel_hi:[1,0,1]
	s_clause 0x1
	global_store_b16 v[8:9], v11, off
	global_store_b16 v[8:9], v10, off offset:32
	s_and_not1_b32 exec_lo, exec_lo, s46
	s_cbranch_execnz .LBB26_5
	s_branch .LBB26_2
.LBB26_6:
	s_nop 0
	s_sendmsg sendmsg(MSG_DEALLOC_VGPRS)
	s_endpgm
	.section	.rodata,"a",@progbits
	.p2align	6, 0x0
	.amdhsa_kernel _ZL10k_get_rowsILi32ELi2EXadL_ZL15dequantize_q4_1PKvliR15HIP_vector_typeIfLj2EEEE6__halfEvS1_PKiPT2_llS2_IjLj3EEmmmmmmmmm
		.amdhsa_group_segment_fixed_size 0
		.amdhsa_private_segment_fixed_size 0
		.amdhsa_kernarg_size 384
		.amdhsa_user_sgpr_count 13
		.amdhsa_user_sgpr_dispatch_ptr 0
		.amdhsa_user_sgpr_queue_ptr 0
		.amdhsa_user_sgpr_kernarg_segment_ptr 1
		.amdhsa_user_sgpr_dispatch_id 0
		.amdhsa_user_sgpr_private_segment_size 0
		.amdhsa_wavefront_size32 1
		.amdhsa_uses_dynamic_stack 0
		.amdhsa_enable_private_segment 0
		.amdhsa_system_sgpr_workgroup_id_x 1
		.amdhsa_system_sgpr_workgroup_id_y 1
		.amdhsa_system_sgpr_workgroup_id_z 1
		.amdhsa_system_sgpr_workgroup_info 0
		.amdhsa_system_vgpr_workitem_id 0
		.amdhsa_next_free_vgpr 14
		.amdhsa_next_free_sgpr 55
		.amdhsa_reserve_vcc 1
		.amdhsa_float_round_mode_32 0
		.amdhsa_float_round_mode_16_64 0
		.amdhsa_float_denorm_mode_32 3
		.amdhsa_float_denorm_mode_16_64 3
		.amdhsa_dx10_clamp 1
		.amdhsa_ieee_mode 1
		.amdhsa_fp16_overflow 0
		.amdhsa_workgroup_processor_mode 1
		.amdhsa_memory_ordered 1
		.amdhsa_forward_progress 0
		.amdhsa_shared_vgpr_count 0
		.amdhsa_exception_fp_ieee_invalid_op 0
		.amdhsa_exception_fp_denorm_src 0
		.amdhsa_exception_fp_ieee_div_zero 0
		.amdhsa_exception_fp_ieee_overflow 0
		.amdhsa_exception_fp_ieee_underflow 0
		.amdhsa_exception_fp_ieee_inexact 0
		.amdhsa_exception_int_div_zero 0
	.end_amdhsa_kernel
	.section	.text._ZL10k_get_rowsILi32ELi2EXadL_ZL15dequantize_q4_1PKvliR15HIP_vector_typeIfLj2EEEE6__halfEvS1_PKiPT2_llS2_IjLj3EEmmmmmmmmm,"axG",@progbits,_ZL10k_get_rowsILi32ELi2EXadL_ZL15dequantize_q4_1PKvliR15HIP_vector_typeIfLj2EEEE6__halfEvS1_PKiPT2_llS2_IjLj3EEmmmmmmmmm,comdat
.Lfunc_end26:
	.size	_ZL10k_get_rowsILi32ELi2EXadL_ZL15dequantize_q4_1PKvliR15HIP_vector_typeIfLj2EEEE6__halfEvS1_PKiPT2_llS2_IjLj3EEmmmmmmmmm, .Lfunc_end26-_ZL10k_get_rowsILi32ELi2EXadL_ZL15dequantize_q4_1PKvliR15HIP_vector_typeIfLj2EEEE6__halfEvS1_PKiPT2_llS2_IjLj3EEmmmmmmmmm
                                        ; -- End function
	.section	.AMDGPU.csdata,"",@progbits
; Kernel info:
; codeLenInByte = 872
; NumSgprs: 57
; NumVgprs: 14
; ScratchSize: 0
; MemoryBound: 0
; FloatMode: 240
; IeeeMode: 1
; LDSByteSize: 0 bytes/workgroup (compile time only)
; SGPRBlocks: 7
; VGPRBlocks: 1
; NumSGPRsForWavesPerEU: 57
; NumVGPRsForWavesPerEU: 14
; Occupancy: 16
; WaveLimiterHint : 1
; COMPUTE_PGM_RSRC2:SCRATCH_EN: 0
; COMPUTE_PGM_RSRC2:USER_SGPR: 13
; COMPUTE_PGM_RSRC2:TRAP_HANDLER: 0
; COMPUTE_PGM_RSRC2:TGID_X_EN: 1
; COMPUTE_PGM_RSRC2:TGID_Y_EN: 1
; COMPUTE_PGM_RSRC2:TGID_Z_EN: 1
; COMPUTE_PGM_RSRC2:TIDIG_COMP_CNT: 0
	.section	.text._ZL10k_get_rowsILi32ELi2EXadL_ZL15dequantize_q5_0PKvliR15HIP_vector_typeIfLj2EEEE6__halfEvS1_PKiPT2_llS2_IjLj3EEmmmmmmmmm,"axG",@progbits,_ZL10k_get_rowsILi32ELi2EXadL_ZL15dequantize_q5_0PKvliR15HIP_vector_typeIfLj2EEEE6__halfEvS1_PKiPT2_llS2_IjLj3EEmmmmmmmmm,comdat
	.globl	_ZL10k_get_rowsILi32ELi2EXadL_ZL15dequantize_q5_0PKvliR15HIP_vector_typeIfLj2EEEE6__halfEvS1_PKiPT2_llS2_IjLj3EEmmmmmmmmm ; -- Begin function _ZL10k_get_rowsILi32ELi2EXadL_ZL15dequantize_q5_0PKvliR15HIP_vector_typeIfLj2EEEE6__halfEvS1_PKiPT2_llS2_IjLj3EEmmmmmmmmm
	.p2align	8
	.type	_ZL10k_get_rowsILi32ELi2EXadL_ZL15dequantize_q5_0PKvliR15HIP_vector_typeIfLj2EEEE6__halfEvS1_PKiPT2_llS2_IjLj3EEmmmmmmmmm,@function
_ZL10k_get_rowsILi32ELi2EXadL_ZL15dequantize_q5_0PKvliR15HIP_vector_typeIfLj2EEEE6__halfEvS1_PKiPT2_llS2_IjLj3EEmmmmmmmmm: ; @_ZL10k_get_rowsILi32ELi2EXadL_ZL15dequantize_q5_0PKvliR15HIP_vector_typeIfLj2EEEE6__halfEvS1_PKiPT2_llS2_IjLj3EEmmmmmmmmm
; %bb.0:
	s_clause 0x1
	s_load_b128 s[4:7], s[0:1], 0x18
	s_load_b64 s[36:37], s[0:1], 0x2c
	s_mov_b32 s34, s15
	s_mov_b32 s35, 0
	s_waitcnt lgkmcnt(0)
	s_mul_i32 s2, s37, s7
	s_mul_hi_u32 s3, s37, s6
	s_mul_i32 s6, s37, s6
	s_add_i32 s7, s3, s2
	s_delay_alu instid0(SALU_CYCLE_1) | instskip(NEXT) | instid1(VALU_DEP_1)
	v_cmp_le_i64_e64 s2, s[6:7], s[34:35]
	s_and_b32 vcc_lo, exec_lo, s2
	s_cbranch_vccnz .LBB27_6
; %bb.1:
	s_clause 0x5
	s_load_b64 s[38:39], s[0:1], 0x88
	s_load_b512 s[16:31], s[0:1], 0x38
	s_load_b64 s[40:41], s[0:1], 0x78
	s_load_b128 s[8:11], s[0:1], 0x0
	s_load_b64 s[44:45], s[0:1], 0x10
	s_load_b32 s3, s[0:1], 0x28
	s_add_u32 s42, s0, 0x80
	s_addc_u32 s43, s1, 0
	s_ashr_i32 s1, s13, 31
	v_mov_b32_e32 v1, 0
	s_waitcnt lgkmcnt(0)
	s_and_b32 s33, s39, 0xffff
	s_mul_i32 s2, s13, s29
	s_mul_hi_u32 s12, s13, s28
	s_mul_i32 s15, s1, s28
	s_mul_i32 s39, s1, s16
	s_add_i32 s1, s12, s2
	s_mul_i32 s0, s13, s28
	s_add_i32 s1, s1, s15
	s_mul_i32 s14, s14, s33
	s_lshl_b64 s[0:1], s[0:1], 2
	s_mul_i32 s28, s13, s17
	s_mul_hi_u32 s29, s13, s16
	v_add_lshl_u32 v0, s14, v0, 1
	s_mul_i32 s12, s13, s16
	s_add_u32 s16, s10, s0
	s_addc_u32 s17, s11, s1
	s_add_i32 s1, s29, s28
	v_cmp_gt_i64_e64 s0, s[4:5], v[0:1]
	s_add_i32 s13, s1, s39
	v_lshlrev_b64 v[2:3], 27, v[0:1]
	s_lshl_b64 s[10:11], s[12:13], 1
	s_delay_alu instid0(SALU_CYCLE_1)
	s_add_u32 s28, s44, s10
	s_addc_u32 s29, s45, s11
	s_mov_b64 s[10:11], s[34:35]
	s_branch .LBB27_3
.LBB27_2:                               ;   in Loop: Header=BB27_3 Depth=1
	s_or_b32 exec_lo, exec_lo, s39
	s_add_u32 s10, s10, s38
	s_addc_u32 s11, s11, 0
	s_delay_alu instid0(SALU_CYCLE_1) | instskip(NEXT) | instid1(VALU_DEP_1)
	v_cmp_ge_i64_e64 s1, s[10:11], s[6:7]
	s_and_b32 vcc_lo, exec_lo, s1
	s_cbranch_vccnz .LBB27_6
.LBB27_3:                               ; =>This Loop Header: Depth=1
                                        ;     Child Loop BB27_5 Depth 2
	s_and_saveexec_b32 s39, s0
	s_cbranch_execz .LBB27_2
; %bb.4:                                ;   in Loop: Header=BB27_3 Depth=1
	s_mul_hi_u32 s1, s10, s3
	v_dual_mov_b32 v5, v3 :: v_dual_mov_b32 v4, v2
	s_add_i32 s1, s1, s10
	v_dual_mov_b32 v7, v1 :: v_dual_mov_b32 v6, v0
	s_lshr_b32 s1, s1, s36
	s_delay_alu instid0(SALU_CYCLE_1)
	s_mul_i32 s2, s1, s37
	s_mul_i32 s12, s1, s31
	s_mul_hi_u32 s13, s1, s30
	s_ashr_i32 s34, s1, 31
	s_add_i32 s12, s13, s12
	s_mul_i32 s13, s34, s30
	s_sub_i32 s2, s10, s2
	s_add_i32 s13, s12, s13
	s_mul_i32 s12, s2, s41
	s_mul_hi_u32 s14, s2, s40
	s_ashr_i32 s46, s2, 31
	s_add_i32 s14, s14, s12
	s_mul_i32 s12, s1, s30
	s_mul_i32 s15, s46, s40
	s_lshl_b64 s[12:13], s[12:13], 2
	s_add_i32 s15, s14, s15
	s_mul_i32 s14, s2, s40
	s_add_u32 s44, s16, s12
	s_addc_u32 s45, s17, s13
	s_lshl_b64 s[12:13], s[14:15], 2
	s_mul_hi_u32 s14, s1, s18
	s_add_u32 s12, s44, s12
	s_addc_u32 s13, s45, s13
	s_load_b32 s47, s[12:13], 0x0
	s_load_b32 s48, s[42:43], 0x4
	s_mul_i32 s13, s1, s19
	s_mul_i32 s15, s34, s18
	s_add_i32 s13, s14, s13
	s_mul_i32 s12, s1, s18
	s_add_i32 s13, s13, s15
	s_mul_i32 s44, s2, s21
	s_lshl_b64 s[12:13], s[12:13], 1
	s_mul_hi_u32 s45, s2, s20
	s_mul_i32 s15, s46, s20
	s_mul_i32 s14, s2, s20
	;; [unrolled: 1-line block ×5, first 2 shown]
	s_waitcnt lgkmcnt(0)
	s_ashr_i32 s50, s47, 31
	s_add_u32 s51, s28, s12
	s_addc_u32 s52, s29, s13
	s_add_i32 s12, s45, s44
	s_mul_i32 s53, s47, s23
	s_add_i32 s15, s12, s15
	s_mul_hi_u32 s54, s47, s22
	s_lshl_b64 s[12:13], s[14:15], 1
	s_mul_i32 s50, s50, s22
	s_add_u32 s44, s51, s12
	s_addc_u32 s45, s52, s13
	s_add_i32 s12, s54, s53
	s_mul_i32 s47, s47, s22
	s_add_i32 s12, s12, s50
	s_mul_hi_u32 s14, s1, s24
	s_add_u32 s13, s8, s47
	s_addc_u32 s12, s9, s12
	s_add_i32 s14, s14, s49
	s_mul_i32 s1, s1, s24
	s_add_i32 s14, s14, s34
	s_add_u32 s1, s13, s1
	s_mul_i32 s13, s2, s27
	s_mul_hi_u32 s15, s2, s26
	s_addc_u32 s14, s12, s14
	s_add_i32 s12, s15, s13
	s_mul_i32 s2, s2, s26
	s_add_i32 s13, s12, s46
	s_mul_i32 s34, s48, s33
	s_add_u32 s12, s1, s2
	s_addc_u32 s13, s14, s13
	s_lshl_b64 s[14:15], s[34:35], 27
	s_mov_b32 s46, 0
.LBB27_5:                               ;   Parent Loop BB27_3 Depth=1
                                        ; =>  This Inner Loop Header: Depth=2
	v_mad_i64_i32 v[8:9], null, v5, 22, s[12:13]
	v_bfe_u32 v10, v6, 1, 4
	s_clause 0x1
	global_load_b32 v11, v[8:9], off
	global_load_u16 v12, v[8:9], off offset:4
	v_add_co_u32 v8, vcc_lo, v8, v10
	v_add_co_ci_u32_e32 v9, vcc_lo, 0, v9, vcc_lo
	v_add_nc_u32_e32 v14, 12, v10
	v_add_co_u32 v4, vcc_lo, v4, s14
	global_load_u8 v13, v[8:9], off offset:6
	v_and_or_b32 v8, 0xffffffe0, v6, v10
	v_add_co_u32 v6, s1, v6, s34
	s_delay_alu instid0(VALU_DEP_1) | instskip(NEXT) | instid1(VALU_DEP_3)
	v_add_co_ci_u32_e64 v7, s1, 0, v7, s1
	v_ashrrev_i32_e32 v9, 31, v8
	v_add_co_ci_u32_e32 v5, vcc_lo, s15, v5, vcc_lo
	s_delay_alu instid0(VALU_DEP_3) | instskip(NEXT) | instid1(VALU_DEP_3)
	v_cmp_le_i64_e64 s1, s[4:5], v[6:7]
	v_lshlrev_b64 v[8:9], 1, v[8:9]
	s_delay_alu instid0(VALU_DEP_2) | instskip(NEXT) | instid1(VALU_DEP_1)
	s_or_b32 s46, s1, s46
	v_add_co_u32 v8, s2, s44, v8
	s_delay_alu instid0(VALU_DEP_1) | instskip(SKIP_2) | instid1(VALU_DEP_1)
	v_add_co_ci_u32_e64 v9, s2, s45, v9, s2
	s_waitcnt vmcnt(1)
	v_perm_b32 v12, v11, v12, 0x1000706
	v_lshrrev_b32_e32 v10, v10, v12
	v_lshrrev_b32_e32 v12, v14, v12
	s_waitcnt vmcnt(0)
	v_lshrrev_b16 v15, 4, v13
	v_or_b32_e32 v13, -16, v13
	v_lshlrev_b32_e32 v10, 4, v10
	v_and_b32_e32 v12, 16, v12
	s_delay_alu instid0(VALU_DEP_4) | instskip(NEXT) | instid1(VALU_DEP_3)
	v_or_b32_e32 v14, -16, v15
	v_and_b32_e32 v10, 16, v10
	s_delay_alu instid0(VALU_DEP_2) | instskip(NEXT) | instid1(VALU_DEP_2)
	v_bfe_i32 v14, v14, 0, 16
	v_add_nc_u32_e32 v10, v13, v10
	s_delay_alu instid0(VALU_DEP_2) | instskip(NEXT) | instid1(VALU_DEP_2)
	v_add_nc_u32_e32 v12, v12, v14
	v_cvt_f32_i32_e32 v10, v10
	s_delay_alu instid0(VALU_DEP_2) | instskip(NEXT) | instid1(VALU_DEP_2)
	v_cvt_f32_i32_e32 v12, v12
	v_fma_mixlo_f16 v10, v11, v10, 0 op_sel_hi:[1,0,0]
	s_delay_alu instid0(VALU_DEP_2)
	v_fma_mixlo_f16 v11, v11, v12, 0 op_sel_hi:[1,0,0]
	s_clause 0x1
	global_store_b16 v[8:9], v10, off
	global_store_b16 v[8:9], v11, off offset:32
	s_and_not1_b32 exec_lo, exec_lo, s46
	s_cbranch_execnz .LBB27_5
	s_branch .LBB27_2
.LBB27_6:
	s_nop 0
	s_sendmsg sendmsg(MSG_DEALLOC_VGPRS)
	s_endpgm
	.section	.rodata,"a",@progbits
	.p2align	6, 0x0
	.amdhsa_kernel _ZL10k_get_rowsILi32ELi2EXadL_ZL15dequantize_q5_0PKvliR15HIP_vector_typeIfLj2EEEE6__halfEvS1_PKiPT2_llS2_IjLj3EEmmmmmmmmm
		.amdhsa_group_segment_fixed_size 0
		.amdhsa_private_segment_fixed_size 0
		.amdhsa_kernarg_size 384
		.amdhsa_user_sgpr_count 13
		.amdhsa_user_sgpr_dispatch_ptr 0
		.amdhsa_user_sgpr_queue_ptr 0
		.amdhsa_user_sgpr_kernarg_segment_ptr 1
		.amdhsa_user_sgpr_dispatch_id 0
		.amdhsa_user_sgpr_private_segment_size 0
		.amdhsa_wavefront_size32 1
		.amdhsa_uses_dynamic_stack 0
		.amdhsa_enable_private_segment 0
		.amdhsa_system_sgpr_workgroup_id_x 1
		.amdhsa_system_sgpr_workgroup_id_y 1
		.amdhsa_system_sgpr_workgroup_id_z 1
		.amdhsa_system_sgpr_workgroup_info 0
		.amdhsa_system_vgpr_workitem_id 0
		.amdhsa_next_free_vgpr 16
		.amdhsa_next_free_sgpr 55
		.amdhsa_reserve_vcc 1
		.amdhsa_float_round_mode_32 0
		.amdhsa_float_round_mode_16_64 0
		.amdhsa_float_denorm_mode_32 3
		.amdhsa_float_denorm_mode_16_64 3
		.amdhsa_dx10_clamp 1
		.amdhsa_ieee_mode 1
		.amdhsa_fp16_overflow 0
		.amdhsa_workgroup_processor_mode 1
		.amdhsa_memory_ordered 1
		.amdhsa_forward_progress 0
		.amdhsa_shared_vgpr_count 0
		.amdhsa_exception_fp_ieee_invalid_op 0
		.amdhsa_exception_fp_denorm_src 0
		.amdhsa_exception_fp_ieee_div_zero 0
		.amdhsa_exception_fp_ieee_overflow 0
		.amdhsa_exception_fp_ieee_underflow 0
		.amdhsa_exception_fp_ieee_inexact 0
		.amdhsa_exception_int_div_zero 0
	.end_amdhsa_kernel
	.section	.text._ZL10k_get_rowsILi32ELi2EXadL_ZL15dequantize_q5_0PKvliR15HIP_vector_typeIfLj2EEEE6__halfEvS1_PKiPT2_llS2_IjLj3EEmmmmmmmmm,"axG",@progbits,_ZL10k_get_rowsILi32ELi2EXadL_ZL15dequantize_q5_0PKvliR15HIP_vector_typeIfLj2EEEE6__halfEvS1_PKiPT2_llS2_IjLj3EEmmmmmmmmm,comdat
.Lfunc_end27:
	.size	_ZL10k_get_rowsILi32ELi2EXadL_ZL15dequantize_q5_0PKvliR15HIP_vector_typeIfLj2EEEE6__halfEvS1_PKiPT2_llS2_IjLj3EEmmmmmmmmm, .Lfunc_end27-_ZL10k_get_rowsILi32ELi2EXadL_ZL15dequantize_q5_0PKvliR15HIP_vector_typeIfLj2EEEE6__halfEvS1_PKiPT2_llS2_IjLj3EEmmmmmmmmm
                                        ; -- End function
	.section	.AMDGPU.csdata,"",@progbits
; Kernel info:
; codeLenInByte = 944
; NumSgprs: 57
; NumVgprs: 16
; ScratchSize: 0
; MemoryBound: 0
; FloatMode: 240
; IeeeMode: 1
; LDSByteSize: 0 bytes/workgroup (compile time only)
; SGPRBlocks: 7
; VGPRBlocks: 1
; NumSGPRsForWavesPerEU: 57
; NumVGPRsForWavesPerEU: 16
; Occupancy: 16
; WaveLimiterHint : 1
; COMPUTE_PGM_RSRC2:SCRATCH_EN: 0
; COMPUTE_PGM_RSRC2:USER_SGPR: 13
; COMPUTE_PGM_RSRC2:TRAP_HANDLER: 0
; COMPUTE_PGM_RSRC2:TGID_X_EN: 1
; COMPUTE_PGM_RSRC2:TGID_Y_EN: 1
; COMPUTE_PGM_RSRC2:TGID_Z_EN: 1
; COMPUTE_PGM_RSRC2:TIDIG_COMP_CNT: 0
	.section	.text._ZL10k_get_rowsILi32ELi2EXadL_ZL15dequantize_q5_1PKvliR15HIP_vector_typeIfLj2EEEE6__halfEvS1_PKiPT2_llS2_IjLj3EEmmmmmmmmm,"axG",@progbits,_ZL10k_get_rowsILi32ELi2EXadL_ZL15dequantize_q5_1PKvliR15HIP_vector_typeIfLj2EEEE6__halfEvS1_PKiPT2_llS2_IjLj3EEmmmmmmmmm,comdat
	.globl	_ZL10k_get_rowsILi32ELi2EXadL_ZL15dequantize_q5_1PKvliR15HIP_vector_typeIfLj2EEEE6__halfEvS1_PKiPT2_llS2_IjLj3EEmmmmmmmmm ; -- Begin function _ZL10k_get_rowsILi32ELi2EXadL_ZL15dequantize_q5_1PKvliR15HIP_vector_typeIfLj2EEEE6__halfEvS1_PKiPT2_llS2_IjLj3EEmmmmmmmmm
	.p2align	8
	.type	_ZL10k_get_rowsILi32ELi2EXadL_ZL15dequantize_q5_1PKvliR15HIP_vector_typeIfLj2EEEE6__halfEvS1_PKiPT2_llS2_IjLj3EEmmmmmmmmm,@function
_ZL10k_get_rowsILi32ELi2EXadL_ZL15dequantize_q5_1PKvliR15HIP_vector_typeIfLj2EEEE6__halfEvS1_PKiPT2_llS2_IjLj3EEmmmmmmmmm: ; @_ZL10k_get_rowsILi32ELi2EXadL_ZL15dequantize_q5_1PKvliR15HIP_vector_typeIfLj2EEEE6__halfEvS1_PKiPT2_llS2_IjLj3EEmmmmmmmmm
; %bb.0:
	s_clause 0x1
	s_load_b128 s[4:7], s[0:1], 0x18
	s_load_b64 s[36:37], s[0:1], 0x2c
	s_mov_b32 s34, s15
	s_mov_b32 s35, 0
	s_waitcnt lgkmcnt(0)
	s_mul_i32 s2, s37, s7
	s_mul_hi_u32 s3, s37, s6
	s_mul_i32 s6, s37, s6
	s_add_i32 s7, s3, s2
	s_delay_alu instid0(SALU_CYCLE_1) | instskip(NEXT) | instid1(VALU_DEP_1)
	v_cmp_le_i64_e64 s2, s[6:7], s[34:35]
	s_and_b32 vcc_lo, exec_lo, s2
	s_cbranch_vccnz .LBB28_6
; %bb.1:
	s_clause 0x5
	s_load_b64 s[38:39], s[0:1], 0x88
	s_load_b512 s[16:31], s[0:1], 0x38
	s_load_b64 s[40:41], s[0:1], 0x78
	s_load_b128 s[8:11], s[0:1], 0x0
	s_load_b64 s[44:45], s[0:1], 0x10
	s_load_b32 s3, s[0:1], 0x28
	s_add_u32 s42, s0, 0x80
	s_addc_u32 s43, s1, 0
	s_ashr_i32 s1, s13, 31
	v_mov_b32_e32 v1, 0
	s_waitcnt lgkmcnt(0)
	s_and_b32 s33, s39, 0xffff
	s_mul_i32 s2, s13, s29
	s_mul_hi_u32 s12, s13, s28
	s_mul_i32 s15, s1, s28
	s_mul_i32 s39, s1, s16
	s_add_i32 s1, s12, s2
	s_mul_i32 s0, s13, s28
	s_add_i32 s1, s1, s15
	s_mul_i32 s14, s14, s33
	s_lshl_b64 s[0:1], s[0:1], 2
	s_mul_i32 s28, s13, s17
	s_mul_hi_u32 s29, s13, s16
	v_add_lshl_u32 v0, s14, v0, 1
	s_mul_i32 s12, s13, s16
	s_add_u32 s16, s10, s0
	s_addc_u32 s17, s11, s1
	s_add_i32 s1, s29, s28
	v_cmp_gt_i64_e64 s0, s[4:5], v[0:1]
	s_add_i32 s13, s1, s39
	v_lshlrev_b64 v[2:3], 27, v[0:1]
	s_lshl_b64 s[10:11], s[12:13], 1
	s_delay_alu instid0(SALU_CYCLE_1)
	s_add_u32 s28, s44, s10
	s_addc_u32 s29, s45, s11
	s_mov_b64 s[10:11], s[34:35]
	s_branch .LBB28_3
.LBB28_2:                               ;   in Loop: Header=BB28_3 Depth=1
	s_or_b32 exec_lo, exec_lo, s39
	s_add_u32 s10, s10, s38
	s_addc_u32 s11, s11, 0
	s_delay_alu instid0(SALU_CYCLE_1) | instskip(NEXT) | instid1(VALU_DEP_1)
	v_cmp_ge_i64_e64 s1, s[10:11], s[6:7]
	s_and_b32 vcc_lo, exec_lo, s1
	s_cbranch_vccnz .LBB28_6
.LBB28_3:                               ; =>This Loop Header: Depth=1
                                        ;     Child Loop BB28_5 Depth 2
	s_and_saveexec_b32 s39, s0
	s_cbranch_execz .LBB28_2
; %bb.4:                                ;   in Loop: Header=BB28_3 Depth=1
	s_mul_hi_u32 s1, s10, s3
	v_dual_mov_b32 v5, v3 :: v_dual_mov_b32 v4, v2
	s_add_i32 s1, s1, s10
	v_dual_mov_b32 v7, v1 :: v_dual_mov_b32 v6, v0
	s_lshr_b32 s1, s1, s36
	s_delay_alu instid0(SALU_CYCLE_1)
	s_mul_i32 s2, s1, s37
	s_mul_i32 s12, s1, s31
	s_mul_hi_u32 s13, s1, s30
	s_ashr_i32 s34, s1, 31
	s_add_i32 s12, s13, s12
	s_mul_i32 s13, s34, s30
	s_sub_i32 s2, s10, s2
	s_add_i32 s13, s12, s13
	s_mul_i32 s12, s2, s41
	s_mul_hi_u32 s14, s2, s40
	s_ashr_i32 s46, s2, 31
	s_add_i32 s14, s14, s12
	s_mul_i32 s12, s1, s30
	s_mul_i32 s15, s46, s40
	s_lshl_b64 s[12:13], s[12:13], 2
	s_add_i32 s15, s14, s15
	s_mul_i32 s14, s2, s40
	s_add_u32 s44, s16, s12
	s_addc_u32 s45, s17, s13
	s_lshl_b64 s[12:13], s[14:15], 2
	s_mul_hi_u32 s14, s1, s18
	s_add_u32 s12, s44, s12
	s_addc_u32 s13, s45, s13
	s_load_b32 s47, s[12:13], 0x0
	s_load_b32 s48, s[42:43], 0x4
	s_mul_i32 s13, s1, s19
	s_mul_i32 s15, s34, s18
	s_add_i32 s13, s14, s13
	s_mul_i32 s12, s1, s18
	s_add_i32 s13, s13, s15
	s_mul_i32 s44, s2, s21
	s_lshl_b64 s[12:13], s[12:13], 1
	s_mul_hi_u32 s45, s2, s20
	s_mul_i32 s15, s46, s20
	s_mul_i32 s14, s2, s20
	;; [unrolled: 1-line block ×5, first 2 shown]
	s_waitcnt lgkmcnt(0)
	s_ashr_i32 s50, s47, 31
	s_add_u32 s51, s28, s12
	s_addc_u32 s52, s29, s13
	s_add_i32 s12, s45, s44
	s_mul_i32 s53, s47, s23
	s_add_i32 s15, s12, s15
	s_mul_hi_u32 s54, s47, s22
	s_lshl_b64 s[12:13], s[14:15], 1
	s_mul_i32 s50, s50, s22
	s_add_u32 s44, s51, s12
	s_addc_u32 s45, s52, s13
	s_add_i32 s12, s54, s53
	s_mul_i32 s47, s47, s22
	s_add_i32 s12, s12, s50
	s_mul_hi_u32 s14, s1, s24
	s_add_u32 s13, s8, s47
	s_addc_u32 s12, s9, s12
	s_add_i32 s14, s14, s49
	s_mul_i32 s1, s1, s24
	s_add_i32 s14, s14, s34
	s_add_u32 s1, s13, s1
	s_mul_i32 s13, s2, s27
	s_mul_hi_u32 s15, s2, s26
	s_addc_u32 s14, s12, s14
	s_add_i32 s12, s15, s13
	s_mul_i32 s2, s2, s26
	s_add_i32 s13, s12, s46
	s_mul_i32 s34, s48, s33
	s_add_u32 s12, s1, s2
	s_addc_u32 s13, s14, s13
	s_lshl_b64 s[14:15], s[34:35], 27
	s_mov_b32 s46, 0
.LBB28_5:                               ;   Parent Loop BB28_3 Depth=1
                                        ; =>  This Inner Loop Header: Depth=2
	v_mad_i64_i32 v[8:9], null, v5, 24, s[12:13]
	v_bfe_u32 v13, v6, 1, 4
	s_clause 0x2
	global_load_u16 v10, v[8:9], off offset:6
	global_load_b32 v11, v[8:9], off
	global_load_u16 v12, v[8:9], off offset:4
	v_add_co_u32 v8, vcc_lo, v8, v13
	v_add_co_ci_u32_e32 v9, vcc_lo, 0, v9, vcc_lo
	v_add_co_u32 v4, vcc_lo, v4, s14
	v_add_co_ci_u32_e32 v5, vcc_lo, s15, v5, vcc_lo
	global_load_u8 v14, v[8:9], off offset:8
	v_and_or_b32 v8, 0xffffffe0, v6, v13
	v_add_co_u32 v6, s1, v6, s34
	s_delay_alu instid0(VALU_DEP_1) | instskip(NEXT) | instid1(VALU_DEP_1)
	v_add_co_ci_u32_e64 v7, s1, 0, v7, s1
	v_cmp_le_i64_e64 s1, s[4:5], v[6:7]
	s_delay_alu instid0(VALU_DEP_1) | instskip(SKIP_3) | instid1(VALU_DEP_2)
	s_or_b32 s46, s1, s46
	s_waitcnt vmcnt(3)
	v_lshrrev_b16 v9, 8, v10
	v_and_b32_e32 v10, 0xff, v10
	v_lshlrev_b32_e32 v9, 24, v9
	s_delay_alu instid0(VALU_DEP_2) | instskip(SKIP_2) | instid1(VALU_DEP_2)
	v_lshlrev_b32_e32 v10, 16, v10
	s_waitcnt vmcnt(0)
	v_and_b32_e32 v15, 15, v14
	v_or3_b32 v10, v10, v12, v9
	v_add_nc_u32_e32 v12, 12, v13
	v_lshrrev_b16 v14, 4, v14
	v_ashrrev_i32_e32 v9, 31, v8
	s_delay_alu instid0(VALU_DEP_4) | instskip(NEXT) | instid1(VALU_DEP_4)
	v_lshrrev_b32_e32 v13, v13, v10
	v_lshrrev_b32_e32 v10, v12, v10
	s_delay_alu instid0(VALU_DEP_3) | instskip(NEXT) | instid1(VALU_DEP_3)
	v_lshlrev_b64 v[8:9], 1, v[8:9]
	v_lshlrev_b32_e32 v12, 4, v13
	s_delay_alu instid0(VALU_DEP_3) | instskip(NEXT) | instid1(VALU_DEP_3)
	v_and_or_b32 v10, v10, 16, v14
	v_add_co_u32 v8, s2, s44, v8
	s_delay_alu instid0(VALU_DEP_3) | instskip(NEXT) | instid1(VALU_DEP_3)
	v_and_or_b32 v12, v12, 16, v15
	v_cvt_f32_ubyte0_e32 v10, v10
	v_add_co_ci_u32_e64 v9, s2, s45, v9, s2
	s_delay_alu instid0(VALU_DEP_3) | instskip(NEXT) | instid1(VALU_DEP_3)
	v_cvt_f32_ubyte0_e32 v12, v12
	v_fma_mixlo_f16 v10, v11, v10, v11 op_sel:[0,0,1] op_sel_hi:[1,0,1]
	s_delay_alu instid0(VALU_DEP_2)
	v_fma_mixlo_f16 v11, v11, v12, v11 op_sel:[0,0,1] op_sel_hi:[1,0,1]
	s_clause 0x1
	global_store_b16 v[8:9], v11, off
	global_store_b16 v[8:9], v10, off offset:32
	s_and_not1_b32 exec_lo, exec_lo, s46
	s_cbranch_execnz .LBB28_5
	s_branch .LBB28_2
.LBB28_6:
	s_nop 0
	s_sendmsg sendmsg(MSG_DEALLOC_VGPRS)
	s_endpgm
	.section	.rodata,"a",@progbits
	.p2align	6, 0x0
	.amdhsa_kernel _ZL10k_get_rowsILi32ELi2EXadL_ZL15dequantize_q5_1PKvliR15HIP_vector_typeIfLj2EEEE6__halfEvS1_PKiPT2_llS2_IjLj3EEmmmmmmmmm
		.amdhsa_group_segment_fixed_size 0
		.amdhsa_private_segment_fixed_size 0
		.amdhsa_kernarg_size 384
		.amdhsa_user_sgpr_count 13
		.amdhsa_user_sgpr_dispatch_ptr 0
		.amdhsa_user_sgpr_queue_ptr 0
		.amdhsa_user_sgpr_kernarg_segment_ptr 1
		.amdhsa_user_sgpr_dispatch_id 0
		.amdhsa_user_sgpr_private_segment_size 0
		.amdhsa_wavefront_size32 1
		.amdhsa_uses_dynamic_stack 0
		.amdhsa_enable_private_segment 0
		.amdhsa_system_sgpr_workgroup_id_x 1
		.amdhsa_system_sgpr_workgroup_id_y 1
		.amdhsa_system_sgpr_workgroup_id_z 1
		.amdhsa_system_sgpr_workgroup_info 0
		.amdhsa_system_vgpr_workitem_id 0
		.amdhsa_next_free_vgpr 16
		.amdhsa_next_free_sgpr 55
		.amdhsa_reserve_vcc 1
		.amdhsa_float_round_mode_32 0
		.amdhsa_float_round_mode_16_64 0
		.amdhsa_float_denorm_mode_32 3
		.amdhsa_float_denorm_mode_16_64 3
		.amdhsa_dx10_clamp 1
		.amdhsa_ieee_mode 1
		.amdhsa_fp16_overflow 0
		.amdhsa_workgroup_processor_mode 1
		.amdhsa_memory_ordered 1
		.amdhsa_forward_progress 0
		.amdhsa_shared_vgpr_count 0
		.amdhsa_exception_fp_ieee_invalid_op 0
		.amdhsa_exception_fp_denorm_src 0
		.amdhsa_exception_fp_ieee_div_zero 0
		.amdhsa_exception_fp_ieee_overflow 0
		.amdhsa_exception_fp_ieee_underflow 0
		.amdhsa_exception_fp_ieee_inexact 0
		.amdhsa_exception_int_div_zero 0
	.end_amdhsa_kernel
	.section	.text._ZL10k_get_rowsILi32ELi2EXadL_ZL15dequantize_q5_1PKvliR15HIP_vector_typeIfLj2EEEE6__halfEvS1_PKiPT2_llS2_IjLj3EEmmmmmmmmm,"axG",@progbits,_ZL10k_get_rowsILi32ELi2EXadL_ZL15dequantize_q5_1PKvliR15HIP_vector_typeIfLj2EEEE6__halfEvS1_PKiPT2_llS2_IjLj3EEmmmmmmmmm,comdat
.Lfunc_end28:
	.size	_ZL10k_get_rowsILi32ELi2EXadL_ZL15dequantize_q5_1PKvliR15HIP_vector_typeIfLj2EEEE6__halfEvS1_PKiPT2_llS2_IjLj3EEmmmmmmmmm, .Lfunc_end28-_ZL10k_get_rowsILi32ELi2EXadL_ZL15dequantize_q5_1PKvliR15HIP_vector_typeIfLj2EEEE6__halfEvS1_PKiPT2_llS2_IjLj3EEmmmmmmmmm
                                        ; -- End function
	.section	.AMDGPU.csdata,"",@progbits
; Kernel info:
; codeLenInByte = 960
; NumSgprs: 57
; NumVgprs: 16
; ScratchSize: 0
; MemoryBound: 0
; FloatMode: 240
; IeeeMode: 1
; LDSByteSize: 0 bytes/workgroup (compile time only)
; SGPRBlocks: 7
; VGPRBlocks: 1
; NumSGPRsForWavesPerEU: 57
; NumVGPRsForWavesPerEU: 16
; Occupancy: 16
; WaveLimiterHint : 1
; COMPUTE_PGM_RSRC2:SCRATCH_EN: 0
; COMPUTE_PGM_RSRC2:USER_SGPR: 13
; COMPUTE_PGM_RSRC2:TRAP_HANDLER: 0
; COMPUTE_PGM_RSRC2:TGID_X_EN: 1
; COMPUTE_PGM_RSRC2:TGID_Y_EN: 1
; COMPUTE_PGM_RSRC2:TGID_Z_EN: 1
; COMPUTE_PGM_RSRC2:TIDIG_COMP_CNT: 0
	.section	.text._ZL10k_get_rowsILi32ELi1EXadL_ZL15dequantize_q8_0PKvliR15HIP_vector_typeIfLj2EEEE6__halfEvS1_PKiPT2_llS2_IjLj3EEmmmmmmmmm,"axG",@progbits,_ZL10k_get_rowsILi32ELi1EXadL_ZL15dequantize_q8_0PKvliR15HIP_vector_typeIfLj2EEEE6__halfEvS1_PKiPT2_llS2_IjLj3EEmmmmmmmmm,comdat
	.globl	_ZL10k_get_rowsILi32ELi1EXadL_ZL15dequantize_q8_0PKvliR15HIP_vector_typeIfLj2EEEE6__halfEvS1_PKiPT2_llS2_IjLj3EEmmmmmmmmm ; -- Begin function _ZL10k_get_rowsILi32ELi1EXadL_ZL15dequantize_q8_0PKvliR15HIP_vector_typeIfLj2EEEE6__halfEvS1_PKiPT2_llS2_IjLj3EEmmmmmmmmm
	.p2align	8
	.type	_ZL10k_get_rowsILi32ELi1EXadL_ZL15dequantize_q8_0PKvliR15HIP_vector_typeIfLj2EEEE6__halfEvS1_PKiPT2_llS2_IjLj3EEmmmmmmmmm,@function
_ZL10k_get_rowsILi32ELi1EXadL_ZL15dequantize_q8_0PKvliR15HIP_vector_typeIfLj2EEEE6__halfEvS1_PKiPT2_llS2_IjLj3EEmmmmmmmmm: ; @_ZL10k_get_rowsILi32ELi1EXadL_ZL15dequantize_q8_0PKvliR15HIP_vector_typeIfLj2EEEE6__halfEvS1_PKiPT2_llS2_IjLj3EEmmmmmmmmm
; %bb.0:
	s_clause 0x1
	s_load_b128 s[4:7], s[0:1], 0x18
	s_load_b64 s[36:37], s[0:1], 0x2c
	s_mov_b32 s34, s15
	s_mov_b32 s35, 0
	s_waitcnt lgkmcnt(0)
	s_mul_i32 s2, s37, s7
	s_mul_hi_u32 s3, s37, s6
	s_mul_i32 s6, s37, s6
	s_add_i32 s7, s3, s2
	s_delay_alu instid0(SALU_CYCLE_1) | instskip(NEXT) | instid1(VALU_DEP_1)
	v_cmp_le_i64_e64 s2, s[6:7], s[34:35]
	s_and_b32 vcc_lo, exec_lo, s2
	s_cbranch_vccnz .LBB29_6
; %bb.1:
	s_clause 0x5
	s_load_b64 s[38:39], s[0:1], 0x88
	s_load_b512 s[16:31], s[0:1], 0x38
	s_load_b64 s[40:41], s[0:1], 0x78
	s_load_b128 s[8:11], s[0:1], 0x0
	s_load_b64 s[44:45], s[0:1], 0x10
	s_load_b32 s3, s[0:1], 0x28
	s_add_u32 s42, s0, 0x80
	s_addc_u32 s43, s1, 0
	s_ashr_i32 s1, s13, 31
	v_mov_b32_e32 v1, 0
	s_waitcnt lgkmcnt(0)
	s_and_b32 s33, s39, 0xffff
	s_mul_i32 s2, s13, s29
	s_mul_hi_u32 s12, s13, s28
	s_mul_i32 s15, s1, s28
	s_mul_i32 s39, s1, s16
	s_add_i32 s1, s12, s2
	s_mul_i32 s0, s13, s28
	s_add_i32 s1, s1, s15
	s_mul_i32 s14, s14, s33
	s_lshl_b64 s[0:1], s[0:1], 2
	s_mul_i32 s28, s13, s17
	s_mul_hi_u32 s29, s13, s16
	v_add_lshl_u32 v0, s14, v0, 1
	s_mul_i32 s12, s13, s16
	s_add_u32 s16, s10, s0
	s_addc_u32 s17, s11, s1
	s_add_i32 s1, s29, s28
	v_cmp_gt_i64_e64 s0, s[4:5], v[0:1]
	s_add_i32 s13, s1, s39
	v_lshlrev_b64 v[4:5], 27, v[0:1]
	v_dual_mov_b32 v2, v1 :: v_dual_mov_b32 v3, v0
	s_lshl_b64 s[10:11], s[12:13], 1
	s_delay_alu instid0(SALU_CYCLE_1)
	s_add_u32 s28, s44, s10
	s_addc_u32 s29, s45, s11
	s_mov_b64 s[10:11], s[34:35]
	s_branch .LBB29_3
.LBB29_2:                               ;   in Loop: Header=BB29_3 Depth=1
	s_set_inst_prefetch_distance 0x2
	s_or_b32 exec_lo, exec_lo, s39
	s_add_u32 s10, s10, s38
	s_addc_u32 s11, s11, 0
	s_delay_alu instid0(SALU_CYCLE_1) | instskip(NEXT) | instid1(VALU_DEP_1)
	v_cmp_ge_i64_e64 s1, s[10:11], s[6:7]
	s_and_b32 vcc_lo, exec_lo, s1
	s_cbranch_vccnz .LBB29_6
.LBB29_3:                               ; =>This Loop Header: Depth=1
                                        ;     Child Loop BB29_5 Depth 2
	s_and_saveexec_b32 s39, s0
	s_cbranch_execz .LBB29_2
; %bb.4:                                ;   in Loop: Header=BB29_3 Depth=1
	s_mul_hi_u32 s1, s10, s3
	v_dual_mov_b32 v7, v3 :: v_dual_mov_b32 v6, v2
	s_add_i32 s1, s1, s10
	v_dual_mov_b32 v9, v5 :: v_dual_mov_b32 v8, v4
	s_lshr_b32 s1, s1, s36
	v_dual_mov_b32 v11, v1 :: v_dual_mov_b32 v10, v0
	s_mul_i32 s2, s1, s37
	s_mul_i32 s12, s1, s31
	s_mul_hi_u32 s13, s1, s30
	s_ashr_i32 s34, s1, 31
	s_add_i32 s12, s13, s12
	s_mul_i32 s13, s34, s30
	s_sub_i32 s2, s10, s2
	s_add_i32 s13, s12, s13
	s_mul_i32 s12, s2, s41
	s_mul_hi_u32 s14, s2, s40
	s_ashr_i32 s46, s2, 31
	s_add_i32 s14, s14, s12
	s_mul_i32 s12, s1, s30
	s_mul_i32 s15, s46, s40
	s_lshl_b64 s[12:13], s[12:13], 2
	s_add_i32 s15, s14, s15
	s_mul_i32 s14, s2, s40
	s_add_u32 s44, s16, s12
	s_addc_u32 s45, s17, s13
	s_lshl_b64 s[12:13], s[14:15], 2
	s_mul_hi_u32 s14, s1, s18
	s_add_u32 s12, s44, s12
	s_addc_u32 s13, s45, s13
	s_load_b32 s47, s[12:13], 0x0
	s_load_b32 s48, s[42:43], 0x4
	s_mul_i32 s13, s1, s19
	s_mul_i32 s15, s34, s18
	s_add_i32 s13, s14, s13
	s_mul_i32 s12, s1, s18
	s_add_i32 s13, s13, s15
	s_mul_i32 s44, s2, s21
	s_lshl_b64 s[12:13], s[12:13], 1
	s_mul_hi_u32 s45, s2, s20
	s_mul_i32 s15, s46, s20
	s_mul_i32 s14, s2, s20
	;; [unrolled: 1-line block ×5, first 2 shown]
	s_waitcnt lgkmcnt(0)
	s_ashr_i32 s50, s47, 31
	s_add_u32 s51, s28, s12
	s_addc_u32 s52, s29, s13
	s_add_i32 s12, s45, s44
	s_mul_i32 s53, s47, s23
	s_add_i32 s15, s12, s15
	s_mul_hi_u32 s54, s47, s22
	s_lshl_b64 s[12:13], s[14:15], 1
	s_mul_i32 s50, s50, s22
	s_add_u32 s44, s51, s12
	s_addc_u32 s45, s52, s13
	s_add_i32 s12, s54, s53
	s_mul_i32 s47, s47, s22
	s_add_i32 s12, s12, s50
	s_mul_hi_u32 s14, s1, s24
	s_add_u32 s13, s8, s47
	s_addc_u32 s12, s9, s12
	s_add_i32 s14, s14, s49
	s_mul_i32 s1, s1, s24
	s_add_i32 s14, s14, s34
	s_add_u32 s1, s13, s1
	s_mul_i32 s13, s2, s27
	s_mul_hi_u32 s15, s2, s26
	s_addc_u32 s14, s12, s14
	s_add_i32 s12, s15, s13
	s_mul_i32 s2, s2, s26
	s_add_i32 s13, s12, s46
	s_mul_i32 s34, s48, s33
	s_add_u32 s12, s1, s2
	s_addc_u32 s13, s14, s13
	s_lshl_b64 s[14:15], s[34:35], 27
	s_mov_b32 s46, 0
	s_mov_b32 s47, s34
	s_set_inst_prefetch_distance 0x1
	.p2align	6
.LBB29_5:                               ;   Parent Loop BB29_3 Depth=1
                                        ; =>  This Inner Loop Header: Depth=2
	v_mad_i64_i32 v[12:13], null, v9, 34, s[12:13]
	v_and_b32_e32 v14, 31, v10
	s_delay_alu instid0(VALU_DEP_1) | instskip(NEXT) | instid1(VALU_DEP_3)
	v_add_co_u32 v14, vcc_lo, v12, v14
	v_add_co_ci_u32_e32 v15, vcc_lo, 0, v13, vcc_lo
	v_add_co_u32 v10, vcc_lo, v10, s34
	s_clause 0x1
	global_load_u16 v16, v[12:13], off
	global_load_u16 v14, v[14:15], off offset:2
	v_ashrrev_i64 v[12:13], 31, v[6:7]
	v_add_co_ci_u32_e32 v11, vcc_lo, 0, v11, vcc_lo
	v_add_co_u32 v8, vcc_lo, v8, s14
	v_add_co_ci_u32_e32 v9, vcc_lo, s15, v9, vcc_lo
	s_delay_alu instid0(VALU_DEP_3) | instskip(SKIP_2) | instid1(VALU_DEP_1)
	v_cmp_le_i64_e64 s1, s[4:5], v[10:11]
	v_add_co_u32 v6, vcc_lo, v6, 0
	v_add_co_u32 v12, s2, s44, v12
	v_add_co_ci_u32_e64 v13, s2, s45, v13, s2
	v_add_co_ci_u32_e32 v7, vcc_lo, s47, v7, vcc_lo
	s_or_b32 s46, s1, s46
	s_waitcnt vmcnt(0)
	v_bfe_i32 v15, v14, 0, 8
	v_ashrrev_i16 v14, 8, v14
	s_delay_alu instid0(VALU_DEP_2) | instskip(NEXT) | instid1(VALU_DEP_2)
	v_bfe_i32 v15, v15, 0, 16
	v_bfe_i32 v14, v14, 0, 16
	s_delay_alu instid0(VALU_DEP_2) | instskip(NEXT) | instid1(VALU_DEP_2)
	v_cvt_f32_i32_e32 v15, v15
	v_cvt_f32_i32_e32 v14, v14
	s_delay_alu instid0(VALU_DEP_2) | instskip(NEXT) | instid1(VALU_DEP_1)
	v_fma_mixlo_f16 v15, v16, v15, 0 op_sel_hi:[1,0,0]
	v_fma_mixhi_f16 v15, v16, v14, 0 op_sel_hi:[1,0,0]
	global_store_b32 v[12:13], v15, off
	s_and_not1_b32 exec_lo, exec_lo, s46
	s_cbranch_execnz .LBB29_5
	s_branch .LBB29_2
.LBB29_6:
	s_nop 0
	s_sendmsg sendmsg(MSG_DEALLOC_VGPRS)
	s_endpgm
	.section	.rodata,"a",@progbits
	.p2align	6, 0x0
	.amdhsa_kernel _ZL10k_get_rowsILi32ELi1EXadL_ZL15dequantize_q8_0PKvliR15HIP_vector_typeIfLj2EEEE6__halfEvS1_PKiPT2_llS2_IjLj3EEmmmmmmmmm
		.amdhsa_group_segment_fixed_size 0
		.amdhsa_private_segment_fixed_size 0
		.amdhsa_kernarg_size 384
		.amdhsa_user_sgpr_count 13
		.amdhsa_user_sgpr_dispatch_ptr 0
		.amdhsa_user_sgpr_queue_ptr 0
		.amdhsa_user_sgpr_kernarg_segment_ptr 1
		.amdhsa_user_sgpr_dispatch_id 0
		.amdhsa_user_sgpr_private_segment_size 0
		.amdhsa_wavefront_size32 1
		.amdhsa_uses_dynamic_stack 0
		.amdhsa_enable_private_segment 0
		.amdhsa_system_sgpr_workgroup_id_x 1
		.amdhsa_system_sgpr_workgroup_id_y 1
		.amdhsa_system_sgpr_workgroup_id_z 1
		.amdhsa_system_sgpr_workgroup_info 0
		.amdhsa_system_vgpr_workitem_id 0
		.amdhsa_next_free_vgpr 17
		.amdhsa_next_free_sgpr 55
		.amdhsa_reserve_vcc 1
		.amdhsa_float_round_mode_32 0
		.amdhsa_float_round_mode_16_64 0
		.amdhsa_float_denorm_mode_32 3
		.amdhsa_float_denorm_mode_16_64 3
		.amdhsa_dx10_clamp 1
		.amdhsa_ieee_mode 1
		.amdhsa_fp16_overflow 0
		.amdhsa_workgroup_processor_mode 1
		.amdhsa_memory_ordered 1
		.amdhsa_forward_progress 0
		.amdhsa_shared_vgpr_count 0
		.amdhsa_exception_fp_ieee_invalid_op 0
		.amdhsa_exception_fp_denorm_src 0
		.amdhsa_exception_fp_ieee_div_zero 0
		.amdhsa_exception_fp_ieee_overflow 0
		.amdhsa_exception_fp_ieee_underflow 0
		.amdhsa_exception_fp_ieee_inexact 0
		.amdhsa_exception_int_div_zero 0
	.end_amdhsa_kernel
	.section	.text._ZL10k_get_rowsILi32ELi1EXadL_ZL15dequantize_q8_0PKvliR15HIP_vector_typeIfLj2EEEE6__halfEvS1_PKiPT2_llS2_IjLj3EEmmmmmmmmm,"axG",@progbits,_ZL10k_get_rowsILi32ELi1EXadL_ZL15dequantize_q8_0PKvliR15HIP_vector_typeIfLj2EEEE6__halfEvS1_PKiPT2_llS2_IjLj3EEmmmmmmmmm,comdat
.Lfunc_end29:
	.size	_ZL10k_get_rowsILi32ELi1EXadL_ZL15dequantize_q8_0PKvliR15HIP_vector_typeIfLj2EEEE6__halfEvS1_PKiPT2_llS2_IjLj3EEmmmmmmmmm, .Lfunc_end29-_ZL10k_get_rowsILi32ELi1EXadL_ZL15dequantize_q8_0PKvliR15HIP_vector_typeIfLj2EEEE6__halfEvS1_PKiPT2_llS2_IjLj3EEmmmmmmmmm
                                        ; -- End function
	.section	.AMDGPU.csdata,"",@progbits
; Kernel info:
; codeLenInByte = 880
; NumSgprs: 57
; NumVgprs: 17
; ScratchSize: 0
; MemoryBound: 0
; FloatMode: 240
; IeeeMode: 1
; LDSByteSize: 0 bytes/workgroup (compile time only)
; SGPRBlocks: 7
; VGPRBlocks: 2
; NumSGPRsForWavesPerEU: 57
; NumVGPRsForWavesPerEU: 17
; Occupancy: 16
; WaveLimiterHint : 1
; COMPUTE_PGM_RSRC2:SCRATCH_EN: 0
; COMPUTE_PGM_RSRC2:USER_SGPR: 13
; COMPUTE_PGM_RSRC2:TRAP_HANDLER: 0
; COMPUTE_PGM_RSRC2:TGID_X_EN: 1
; COMPUTE_PGM_RSRC2:TGID_Y_EN: 1
; COMPUTE_PGM_RSRC2:TGID_Z_EN: 1
; COMPUTE_PGM_RSRC2:TIDIG_COMP_CNT: 0
	.section	.text._ZL16k_get_rows_floatI6__half14__hip_bfloat16EvPKT_PKiPT0_ll15HIP_vector_typeIjLj3EEmmmmmmmmm,"axG",@progbits,_ZL16k_get_rows_floatI6__half14__hip_bfloat16EvPKT_PKiPT0_ll15HIP_vector_typeIjLj3EEmmmmmmmmm,comdat
	.globl	_ZL16k_get_rows_floatI6__half14__hip_bfloat16EvPKT_PKiPT0_ll15HIP_vector_typeIjLj3EEmmmmmmmmm ; -- Begin function _ZL16k_get_rows_floatI6__half14__hip_bfloat16EvPKT_PKiPT0_ll15HIP_vector_typeIjLj3EEmmmmmmmmm
	.p2align	8
	.type	_ZL16k_get_rows_floatI6__half14__hip_bfloat16EvPKT_PKiPT0_ll15HIP_vector_typeIjLj3EEmmmmmmmmm,@function
_ZL16k_get_rows_floatI6__half14__hip_bfloat16EvPKT_PKiPT0_ll15HIP_vector_typeIjLj3EEmmmmmmmmm: ; @_ZL16k_get_rows_floatI6__half14__hip_bfloat16EvPKT_PKiPT0_ll15HIP_vector_typeIjLj3EEmmmmmmmmm
; %bb.0:
	s_clause 0x1
	s_load_b64 s[4:5], s[0:1], 0x20
	s_load_b64 s[34:35], s[0:1], 0x2c
	s_mov_b32 s2, s15
	s_mov_b32 s3, 0
	s_waitcnt lgkmcnt(0)
	s_mul_i32 s5, s35, s5
	s_mul_hi_u32 s6, s35, s4
	s_mul_i32 s36, s35, s4
	s_add_i32 s37, s6, s5
	s_delay_alu instid0(SALU_CYCLE_1) | instskip(NEXT) | instid1(VALU_DEP_1)
	v_cmp_le_i64_e64 s4, s[36:37], s[2:3]
	s_and_b32 vcc_lo, exec_lo, s4
	s_cbranch_vccnz .LBB30_10
; %bb.1:
	s_clause 0x4
	s_load_b64 s[38:39], s[0:1], 0x88
	s_load_b512 s[16:31], s[0:1], 0x38
	s_load_b256 s[4:11], s[0:1], 0x0
	s_load_b64 s[40:41], s[0:1], 0x78
	s_load_b32 s33, s[0:1], 0x28
	s_add_u32 s42, s0, 0x80
	s_addc_u32 s43, s1, 0
	s_ashr_i32 s1, s13, 31
	s_waitcnt lgkmcnt(0)
	s_and_b32 s39, s39, 0xffff
	s_mul_i32 s12, s13, s29
	s_mul_hi_u32 s15, s13, s28
	s_mul_i32 s29, s1, s28
	s_mul_i32 s45, s16, s1
	s_add_i32 s1, s15, s12
	v_mad_u64_u32 v[1:2], null, s14, s39, v[0:1]
	s_mul_i32 s0, s13, s28
	s_add_i32 s1, s1, s29
	v_mov_b32_e32 v2, 0
	s_lshl_b64 s[0:1], s[0:1], 2
	s_mul_hi_u32 s44, s16, s13
	s_mul_i32 s12, s17, s13
	s_add_u32 s17, s6, s0
	s_addc_u32 s28, s7, s1
	s_add_i32 s1, s44, s45
	s_mul_i32 s0, s16, s13
	s_add_i32 s1, s1, s12
	v_lshlrev_b64 v[3:4], 1, v[1:2]
	s_lshl_b64 s[6:7], s[0:1], 1
	v_cmp_gt_i64_e64 s0, s[10:11], v[1:2]
	s_add_u32 s1, s8, s6
	s_addc_u32 s6, s9, s7
	s_mov_b64 s[8:9], s[2:3]
	v_add_co_u32 v0, vcc_lo, s1, v3
	v_add_co_ci_u32_e32 v5, vcc_lo, s6, v4, vcc_lo
	v_add_co_u32 v6, vcc_lo, s4, v3
	v_add_co_ci_u32_e32 v7, vcc_lo, s5, v4, vcc_lo
	s_lshl_b64 s[4:5], s[18:19], 1
	s_lshl_b64 s[6:7], s[20:21], 1
	s_branch .LBB30_3
.LBB30_2:                               ;   in Loop: Header=BB30_3 Depth=1
	s_set_inst_prefetch_distance 0x2
	s_or_b32 exec_lo, exec_lo, s16
	s_add_u32 s8, s8, s38
	s_addc_u32 s9, s9, 0
	s_delay_alu instid0(SALU_CYCLE_1) | instskip(NEXT) | instid1(VALU_DEP_1)
	v_cmp_lt_i64_e64 s1, s[8:9], s[36:37]
	s_and_b32 vcc_lo, exec_lo, s1
	s_cbranch_vccz .LBB30_10
.LBB30_3:                               ; =>This Loop Header: Depth=1
                                        ;     Child Loop BB30_6 Depth 2
	s_and_saveexec_b32 s16, s0
	s_cbranch_execz .LBB30_2
; %bb.4:                                ;   in Loop: Header=BB30_3 Depth=1
	s_mul_hi_u32 s1, s8, s33
	v_dual_mov_b32 v4, v2 :: v_dual_mov_b32 v3, v1
	s_add_i32 s1, s1, s8
	s_delay_alu instid0(SALU_CYCLE_1) | instskip(NEXT) | instid1(SALU_CYCLE_1)
	s_lshr_b32 s1, s1, s34
	s_mul_i32 s2, s1, s35
	s_mul_i32 s12, s1, s31
	s_mul_hi_u32 s13, s1, s30
	s_ashr_i32 s18, s1, 31
	s_add_i32 s12, s13, s12
	s_mul_i32 s13, s18, s30
	s_sub_i32 s19, s8, s2
	s_add_i32 s13, s12, s13
	s_mul_i32 s2, s19, s41
	s_mul_hi_u32 s12, s19, s40
	s_ashr_i32 s20, s19, 31
	s_add_i32 s2, s12, s2
	s_mul_i32 s12, s1, s30
	s_mul_i32 s14, s20, s40
	s_lshl_b64 s[12:13], s[12:13], 2
	s_add_i32 s15, s2, s14
	s_mul_i32 s14, s19, s40
	s_add_u32 s2, s17, s12
	s_addc_u32 s21, s28, s13
	s_lshl_b64 s[12:13], s[14:15], 2
	s_mul_hi_u32 s14, s1, s24
	s_add_u32 s12, s2, s12
	s_addc_u32 s13, s21, s13
	s_load_b32 s2, s[42:43], 0x4
	s_load_b32 s12, s[12:13], 0x0
	s_mul_i32 s13, s1, s25
	s_mul_hi_u32 s21, s4, s1
	s_mul_i32 s44, s18, s24
	s_mul_i32 s18, s4, s18
	;; [unrolled: 1-line block ×3, first 2 shown]
	s_add_i32 s13, s14, s13
	s_add_i32 s14, s21, s18
	;; [unrolled: 1-line block ×4, first 2 shown]
	s_mul_i32 s15, s1, s24
	s_mul_i32 s1, s4, s1
	;; [unrolled: 1-line block ×3, first 2 shown]
	s_waitcnt lgkmcnt(0)
	s_mul_i32 s2, s2, s39
	s_mul_i32 s13, s12, s23
	s_mul_hi_u32 s21, s12, s22
	s_ashr_i32 s29, s12, 31
	s_add_i32 s13, s21, s13
	s_mul_i32 s29, s29, s22
	s_mul_i32 s21, s12, s22
	s_add_i32 s29, s13, s29
	s_mul_i32 s12, s6, s20
	s_mul_hi_u32 s13, s6, s19
	s_delay_alu instid0(SALU_CYCLE_1) | instskip(SKIP_1) | instid1(SALU_CYCLE_1)
	s_add_i32 s12, s13, s12
	s_mul_i32 s13, s7, s19
	s_add_i32 s12, s12, s13
	s_add_u32 s1, s1, s44
	s_addc_u32 s12, s14, s12
	v_add_co_u32 v8, vcc_lo, v0, s1
	v_add_co_ci_u32_e32 v9, vcc_lo, s12, v5, vcc_lo
	s_lshl_b64 s[12:13], s[2:3], 1
	s_add_u32 s1, s15, s21
	s_mul_i32 s14, s26, s20
	s_mul_hi_u32 s15, s26, s19
	s_addc_u32 s18, s18, s29
	s_add_i32 s14, s15, s14
	s_mul_i32 s15, s27, s19
	s_mul_i32 s19, s26, s19
	s_add_i32 s14, s14, s15
	s_add_u32 s1, s1, s19
	s_addc_u32 s14, s18, s14
	v_add_co_u32 v10, vcc_lo, v6, s1
	v_add_co_ci_u32_e32 v11, vcc_lo, s14, v7, vcc_lo
	s_mov_b64 s[14:15], 0
	s_mov_b32 s18, 0
	s_set_inst_prefetch_distance 0x1
	s_branch .LBB30_6
	.p2align	6
.LBB30_5:                               ;   in Loop: Header=BB30_6 Depth=2
	s_or_b32 exec_lo, exec_lo, s1
	v_add_co_u32 v3, vcc_lo, v3, s2
	v_add_co_ci_u32_e32 v4, vcc_lo, 0, v4, vcc_lo
	v_add_co_u32 v13, s1, v8, s14
	s_delay_alu instid0(VALU_DEP_1) | instskip(NEXT) | instid1(VALU_DEP_3)
	v_add_co_ci_u32_e64 v14, s1, s15, v9, s1
	v_cmp_le_i64_e32 vcc_lo, s[10:11], v[3:4]
	s_add_u32 s14, s14, s12
	s_addc_u32 s15, s15, s13
	global_store_d16_hi_b16 v[13:14], v12, off
	s_or_b32 s18, vcc_lo, s18
	s_delay_alu instid0(SALU_CYCLE_1)
	s_and_not1_b32 exec_lo, exec_lo, s18
	s_cbranch_execz .LBB30_2
.LBB30_6:                               ;   Parent Loop BB30_3 Depth=1
                                        ; =>  This Inner Loop Header: Depth=2
	v_add_co_u32 v12, vcc_lo, v10, s14
	v_add_co_ci_u32_e32 v13, vcc_lo, s15, v11, vcc_lo
	global_load_u16 v12, v[12:13], off
	s_waitcnt vmcnt(0)
	v_cvt_f32_f16_e32 v13, v12
	s_delay_alu instid0(VALU_DEP_1) | instskip(NEXT) | instid1(VALU_DEP_1)
	v_and_b32_e32 v12, 0x7f800000, v13
	v_cmp_ne_u32_e32 vcc_lo, 0x7f800000, v12
                                        ; implicit-def: $vgpr12
	s_and_saveexec_b32 s1, vcc_lo
	s_delay_alu instid0(SALU_CYCLE_1)
	s_xor_b32 s1, exec_lo, s1
; %bb.7:                                ;   in Loop: Header=BB30_6 Depth=2
	v_bfe_u32 v12, v13, 16, 1
	s_delay_alu instid0(VALU_DEP_1)
	v_add3_u32 v12, v13, v12, 0x7fff
                                        ; implicit-def: $vgpr13
; %bb.8:                                ;   in Loop: Header=BB30_6 Depth=2
	s_and_not1_saveexec_b32 s1, s1
	s_cbranch_execz .LBB30_5
; %bb.9:                                ;   in Loop: Header=BB30_6 Depth=2
	v_and_b32_e32 v12, 0xffff, v13
	v_or_b32_e32 v14, 0x10000, v13
	s_delay_alu instid0(VALU_DEP_2) | instskip(NEXT) | instid1(VALU_DEP_2)
	v_cmp_eq_u32_e32 vcc_lo, 0, v12
	v_cndmask_b32_e32 v12, v14, v13, vcc_lo
	s_branch .LBB30_5
.LBB30_10:
	s_nop 0
	s_sendmsg sendmsg(MSG_DEALLOC_VGPRS)
	s_endpgm
	.section	.rodata,"a",@progbits
	.p2align	6, 0x0
	.amdhsa_kernel _ZL16k_get_rows_floatI6__half14__hip_bfloat16EvPKT_PKiPT0_ll15HIP_vector_typeIjLj3EEmmmmmmmmm
		.amdhsa_group_segment_fixed_size 0
		.amdhsa_private_segment_fixed_size 0
		.amdhsa_kernarg_size 384
		.amdhsa_user_sgpr_count 13
		.amdhsa_user_sgpr_dispatch_ptr 0
		.amdhsa_user_sgpr_queue_ptr 0
		.amdhsa_user_sgpr_kernarg_segment_ptr 1
		.amdhsa_user_sgpr_dispatch_id 0
		.amdhsa_user_sgpr_private_segment_size 0
		.amdhsa_wavefront_size32 1
		.amdhsa_uses_dynamic_stack 0
		.amdhsa_enable_private_segment 0
		.amdhsa_system_sgpr_workgroup_id_x 1
		.amdhsa_system_sgpr_workgroup_id_y 1
		.amdhsa_system_sgpr_workgroup_id_z 1
		.amdhsa_system_sgpr_workgroup_info 0
		.amdhsa_system_vgpr_workitem_id 0
		.amdhsa_next_free_vgpr 15
		.amdhsa_next_free_sgpr 46
		.amdhsa_reserve_vcc 1
		.amdhsa_float_round_mode_32 0
		.amdhsa_float_round_mode_16_64 0
		.amdhsa_float_denorm_mode_32 3
		.amdhsa_float_denorm_mode_16_64 3
		.amdhsa_dx10_clamp 1
		.amdhsa_ieee_mode 1
		.amdhsa_fp16_overflow 0
		.amdhsa_workgroup_processor_mode 1
		.amdhsa_memory_ordered 1
		.amdhsa_forward_progress 0
		.amdhsa_shared_vgpr_count 0
		.amdhsa_exception_fp_ieee_invalid_op 0
		.amdhsa_exception_fp_denorm_src 0
		.amdhsa_exception_fp_ieee_div_zero 0
		.amdhsa_exception_fp_ieee_overflow 0
		.amdhsa_exception_fp_ieee_underflow 0
		.amdhsa_exception_fp_ieee_inexact 0
		.amdhsa_exception_int_div_zero 0
	.end_amdhsa_kernel
	.section	.text._ZL16k_get_rows_floatI6__half14__hip_bfloat16EvPKT_PKiPT0_ll15HIP_vector_typeIjLj3EEmmmmmmmmm,"axG",@progbits,_ZL16k_get_rows_floatI6__half14__hip_bfloat16EvPKT_PKiPT0_ll15HIP_vector_typeIjLj3EEmmmmmmmmm,comdat
.Lfunc_end30:
	.size	_ZL16k_get_rows_floatI6__half14__hip_bfloat16EvPKT_PKiPT0_ll15HIP_vector_typeIjLj3EEmmmmmmmmm, .Lfunc_end30-_ZL16k_get_rows_floatI6__half14__hip_bfloat16EvPKT_PKiPT0_ll15HIP_vector_typeIjLj3EEmmmmmmmmm
                                        ; -- End function
	.section	.AMDGPU.csdata,"",@progbits
; Kernel info:
; codeLenInByte = 864
; NumSgprs: 48
; NumVgprs: 15
; ScratchSize: 0
; MemoryBound: 0
; FloatMode: 240
; IeeeMode: 1
; LDSByteSize: 0 bytes/workgroup (compile time only)
; SGPRBlocks: 5
; VGPRBlocks: 1
; NumSGPRsForWavesPerEU: 48
; NumVGPRsForWavesPerEU: 15
; Occupancy: 16
; WaveLimiterHint : 1
; COMPUTE_PGM_RSRC2:SCRATCH_EN: 0
; COMPUTE_PGM_RSRC2:USER_SGPR: 13
; COMPUTE_PGM_RSRC2:TRAP_HANDLER: 0
; COMPUTE_PGM_RSRC2:TGID_X_EN: 1
; COMPUTE_PGM_RSRC2:TGID_Y_EN: 1
; COMPUTE_PGM_RSRC2:TGID_Z_EN: 1
; COMPUTE_PGM_RSRC2:TIDIG_COMP_CNT: 0
	.section	.text._ZL16k_get_rows_floatIf14__hip_bfloat16EvPKT_PKiPT0_ll15HIP_vector_typeIjLj3EEmmmmmmmmm,"axG",@progbits,_ZL16k_get_rows_floatIf14__hip_bfloat16EvPKT_PKiPT0_ll15HIP_vector_typeIjLj3EEmmmmmmmmm,comdat
	.globl	_ZL16k_get_rows_floatIf14__hip_bfloat16EvPKT_PKiPT0_ll15HIP_vector_typeIjLj3EEmmmmmmmmm ; -- Begin function _ZL16k_get_rows_floatIf14__hip_bfloat16EvPKT_PKiPT0_ll15HIP_vector_typeIjLj3EEmmmmmmmmm
	.p2align	8
	.type	_ZL16k_get_rows_floatIf14__hip_bfloat16EvPKT_PKiPT0_ll15HIP_vector_typeIjLj3EEmmmmmmmmm,@function
_ZL16k_get_rows_floatIf14__hip_bfloat16EvPKT_PKiPT0_ll15HIP_vector_typeIjLj3EEmmmmmmmmm: ; @_ZL16k_get_rows_floatIf14__hip_bfloat16EvPKT_PKiPT0_ll15HIP_vector_typeIjLj3EEmmmmmmmmm
; %bb.0:
	s_clause 0x1
	s_load_b64 s[4:5], s[0:1], 0x20
	s_load_b64 s[34:35], s[0:1], 0x2c
	s_mov_b32 s2, s15
	s_mov_b32 s3, 0
	s_waitcnt lgkmcnt(0)
	s_mul_i32 s5, s35, s5
	s_mul_hi_u32 s6, s35, s4
	s_mul_i32 s36, s35, s4
	s_add_i32 s37, s6, s5
	s_delay_alu instid0(SALU_CYCLE_1) | instskip(NEXT) | instid1(VALU_DEP_1)
	v_cmp_le_i64_e64 s4, s[36:37], s[2:3]
	s_and_b32 vcc_lo, exec_lo, s4
	s_cbranch_vccnz .LBB31_10
; %bb.1:
	s_clause 0x4
	s_load_b64 s[38:39], s[0:1], 0x88
	s_load_b512 s[16:31], s[0:1], 0x38
	s_load_b64 s[40:41], s[0:1], 0x78
	s_load_b256 s[4:11], s[0:1], 0x0
	s_load_b32 s33, s[0:1], 0x28
	s_add_u32 s42, s0, 0x80
	s_addc_u32 s43, s1, 0
	s_ashr_i32 s1, s13, 31
	s_waitcnt lgkmcnt(0)
	s_and_b32 s39, s39, 0xffff
	s_mul_i32 s12, s13, s29
	s_mul_hi_u32 s15, s13, s28
	s_mul_i32 s29, s1, s28
	s_mul_i32 s44, s16, s1
	s_add_i32 s1, s15, s12
	v_mad_u64_u32 v[1:2], null, s14, s39, v[0:1]
	s_mul_i32 s0, s13, s28
	s_add_i32 s1, s1, s29
	v_mov_b32_e32 v2, 0
	s_lshl_b64 s[0:1], s[0:1], 2
	s_mul_hi_u32 s28, s16, s13
	s_mul_i32 s12, s16, s13
	s_add_u32 s16, s6, s0
	s_mul_i32 s45, s17, s13
	s_addc_u32 s17, s7, s1
	s_add_i32 s1, s28, s44
	v_lshlrev_b64 v[3:4], 1, v[1:2]
	s_add_i32 s13, s1, s45
	v_lshlrev_b64 v[5:6], 2, v[1:2]
	s_lshl_b64 s[6:7], s[12:13], 1
	v_cmp_gt_i64_e64 s0, s[10:11], v[1:2]
	s_add_u32 s1, s8, s6
	s_addc_u32 s6, s9, s7
	v_add_co_u32 v0, vcc_lo, s1, v3
	v_add_co_ci_u32_e32 v9, vcc_lo, s6, v4, vcc_lo
	v_add_co_u32 v10, vcc_lo, s4, v5
	v_add_co_ci_u32_e32 v11, vcc_lo, s5, v6, vcc_lo
	s_lshl_b64 s[4:5], s[18:19], 1
	s_lshl_b64 s[6:7], s[20:21], 1
	s_mov_b64 s[8:9], s[2:3]
	s_branch .LBB31_3
.LBB31_2:                               ;   in Loop: Header=BB31_3 Depth=1
	s_set_inst_prefetch_distance 0x2
	s_or_b32 exec_lo, exec_lo, s18
	s_add_u32 s8, s8, s38
	s_addc_u32 s9, s9, 0
	s_delay_alu instid0(SALU_CYCLE_1) | instskip(NEXT) | instid1(VALU_DEP_1)
	v_cmp_lt_i64_e64 s1, s[8:9], s[36:37]
	s_and_b32 vcc_lo, exec_lo, s1
	s_cbranch_vccz .LBB31_10
.LBB31_3:                               ; =>This Loop Header: Depth=1
                                        ;     Child Loop BB31_6 Depth 2
	s_and_saveexec_b32 s18, s0
	s_cbranch_execz .LBB31_2
; %bb.4:                                ;   in Loop: Header=BB31_3 Depth=1
	s_mul_hi_u32 s1, s8, s33
	v_dual_mov_b32 v8, v2 :: v_dual_mov_b32 v7, v1
	s_add_i32 s1, s1, s8
	s_delay_alu instid0(SALU_CYCLE_1) | instskip(NEXT) | instid1(SALU_CYCLE_1)
	s_lshr_b32 s1, s1, s34
	s_mul_i32 s2, s1, s35
	s_mul_i32 s12, s1, s31
	s_mul_hi_u32 s13, s1, s30
	s_ashr_i32 s19, s1, 31
	s_add_i32 s12, s13, s12
	s_mul_i32 s13, s19, s30
	s_sub_i32 s20, s8, s2
	s_add_i32 s13, s12, s13
	s_mul_i32 s2, s20, s41
	s_mul_hi_u32 s12, s20, s40
	s_ashr_i32 s21, s20, 31
	s_add_i32 s2, s12, s2
	s_mul_i32 s12, s1, s30
	s_mul_i32 s14, s21, s40
	s_lshl_b64 s[12:13], s[12:13], 2
	s_add_i32 s15, s2, s14
	s_mul_i32 s14, s20, s40
	s_add_u32 s2, s16, s12
	s_addc_u32 s28, s17, s13
	s_lshl_b64 s[12:13], s[14:15], 2
	s_mul_hi_u32 s14, s1, s24
	s_add_u32 s12, s2, s12
	s_addc_u32 s13, s28, s13
	s_load_b32 s2, s[42:43], 0x4
	s_load_b32 s12, s[12:13], 0x0
	s_mul_i32 s13, s1, s25
	s_mul_hi_u32 s28, s4, s1
	s_mul_i32 s44, s19, s24
	s_mul_i32 s19, s4, s19
	;; [unrolled: 1-line block ×3, first 2 shown]
	s_add_i32 s13, s14, s13
	s_add_i32 s14, s28, s19
	;; [unrolled: 1-line block ×4, first 2 shown]
	s_mul_i32 s15, s1, s24
	s_mul_i32 s1, s4, s1
	;; [unrolled: 1-line block ×3, first 2 shown]
	s_waitcnt lgkmcnt(0)
	s_mul_i32 s2, s2, s39
	s_mul_i32 s13, s12, s23
	s_mul_hi_u32 s28, s12, s22
	s_ashr_i32 s29, s12, 31
	s_add_i32 s13, s28, s13
	s_mul_i32 s29, s29, s22
	s_mul_i32 s28, s12, s22
	s_add_i32 s29, s13, s29
	s_mul_i32 s12, s6, s21
	s_mul_hi_u32 s13, s6, s20
	s_delay_alu instid0(SALU_CYCLE_1) | instskip(SKIP_1) | instid1(SALU_CYCLE_1)
	s_add_i32 s12, s13, s12
	s_mul_i32 s13, s7, s20
	s_add_i32 s12, s12, s13
	s_add_u32 s1, s1, s44
	s_addc_u32 s12, s14, s12
	v_add_co_u32 v3, vcc_lo, v0, s1
	v_add_co_ci_u32_e32 v4, vcc_lo, s12, v9, vcc_lo
	s_lshl_b64 s[12:13], s[2:3], 1
	s_add_u32 s1, s15, s28
	s_mul_i32 s14, s26, s21
	s_mul_hi_u32 s15, s26, s20
	s_addc_u32 s19, s19, s29
	s_add_i32 s14, s15, s14
	s_mul_i32 s15, s27, s20
	s_mul_i32 s20, s26, s20
	s_add_i32 s14, s14, s15
	s_add_u32 s1, s1, s20
	s_addc_u32 s14, s19, s14
	v_add_co_u32 v5, vcc_lo, v10, s1
	v_add_co_ci_u32_e32 v6, vcc_lo, s14, v11, vcc_lo
	s_lshl_b64 s[14:15], s[2:3], 2
	s_mov_b32 s19, 0
	s_set_inst_prefetch_distance 0x1
	s_branch .LBB31_6
	.p2align	6
.LBB31_5:                               ;   in Loop: Header=BB31_6 Depth=2
	s_or_b32 exec_lo, exec_lo, s1
	v_add_co_u32 v7, vcc_lo, v7, s2
	v_add_co_ci_u32_e32 v8, vcc_lo, 0, v8, vcc_lo
	global_store_d16_hi_b16 v[3:4], v13, off
	v_add_co_u32 v3, vcc_lo, v3, s12
	v_add_co_ci_u32_e32 v4, vcc_lo, s13, v4, vcc_lo
	v_cmp_le_i64_e32 vcc_lo, s[10:11], v[7:8]
	v_add_co_u32 v5, s1, v5, s14
	s_delay_alu instid0(VALU_DEP_1) | instskip(SKIP_1) | instid1(SALU_CYCLE_1)
	v_add_co_ci_u32_e64 v6, s1, s15, v6, s1
	s_or_b32 s19, vcc_lo, s19
	s_and_not1_b32 exec_lo, exec_lo, s19
	s_cbranch_execz .LBB31_2
.LBB31_6:                               ;   Parent Loop BB31_3 Depth=1
                                        ; =>  This Inner Loop Header: Depth=2
	global_load_b32 v12, v[5:6], off
	s_waitcnt vmcnt(0)
	v_and_b32_e32 v13, 0x7f800000, v12
	s_delay_alu instid0(VALU_DEP_1) | instskip(SKIP_1) | instid1(SALU_CYCLE_1)
	v_cmp_ne_u32_e32 vcc_lo, 0x7f800000, v13
                                        ; implicit-def: $vgpr13
	s_and_saveexec_b32 s1, vcc_lo
	s_xor_b32 s1, exec_lo, s1
; %bb.7:                                ;   in Loop: Header=BB31_6 Depth=2
	v_bfe_u32 v13, v12, 16, 1
	s_delay_alu instid0(VALU_DEP_1)
	v_add3_u32 v13, v12, v13, 0x7fff
                                        ; implicit-def: $vgpr12
; %bb.8:                                ;   in Loop: Header=BB31_6 Depth=2
	s_and_not1_saveexec_b32 s1, s1
	s_cbranch_execz .LBB31_5
; %bb.9:                                ;   in Loop: Header=BB31_6 Depth=2
	v_and_b32_e32 v13, 0xffff, v12
	v_or_b32_e32 v14, 0x10000, v12
	s_delay_alu instid0(VALU_DEP_2) | instskip(NEXT) | instid1(VALU_DEP_2)
	v_cmp_eq_u32_e32 vcc_lo, 0, v13
	v_cndmask_b32_e32 v13, v14, v12, vcc_lo
	s_branch .LBB31_5
.LBB31_10:
	s_nop 0
	s_sendmsg sendmsg(MSG_DEALLOC_VGPRS)
	s_endpgm
	.section	.rodata,"a",@progbits
	.p2align	6, 0x0
	.amdhsa_kernel _ZL16k_get_rows_floatIf14__hip_bfloat16EvPKT_PKiPT0_ll15HIP_vector_typeIjLj3EEmmmmmmmmm
		.amdhsa_group_segment_fixed_size 0
		.amdhsa_private_segment_fixed_size 0
		.amdhsa_kernarg_size 384
		.amdhsa_user_sgpr_count 13
		.amdhsa_user_sgpr_dispatch_ptr 0
		.amdhsa_user_sgpr_queue_ptr 0
		.amdhsa_user_sgpr_kernarg_segment_ptr 1
		.amdhsa_user_sgpr_dispatch_id 0
		.amdhsa_user_sgpr_private_segment_size 0
		.amdhsa_wavefront_size32 1
		.amdhsa_uses_dynamic_stack 0
		.amdhsa_enable_private_segment 0
		.amdhsa_system_sgpr_workgroup_id_x 1
		.amdhsa_system_sgpr_workgroup_id_y 1
		.amdhsa_system_sgpr_workgroup_id_z 1
		.amdhsa_system_sgpr_workgroup_info 0
		.amdhsa_system_vgpr_workitem_id 0
		.amdhsa_next_free_vgpr 15
		.amdhsa_next_free_sgpr 46
		.amdhsa_reserve_vcc 1
		.amdhsa_float_round_mode_32 0
		.amdhsa_float_round_mode_16_64 0
		.amdhsa_float_denorm_mode_32 3
		.amdhsa_float_denorm_mode_16_64 3
		.amdhsa_dx10_clamp 1
		.amdhsa_ieee_mode 1
		.amdhsa_fp16_overflow 0
		.amdhsa_workgroup_processor_mode 1
		.amdhsa_memory_ordered 1
		.amdhsa_forward_progress 0
		.amdhsa_shared_vgpr_count 0
		.amdhsa_exception_fp_ieee_invalid_op 0
		.amdhsa_exception_fp_denorm_src 0
		.amdhsa_exception_fp_ieee_div_zero 0
		.amdhsa_exception_fp_ieee_overflow 0
		.amdhsa_exception_fp_ieee_underflow 0
		.amdhsa_exception_fp_ieee_inexact 0
		.amdhsa_exception_int_div_zero 0
	.end_amdhsa_kernel
	.section	.text._ZL16k_get_rows_floatIf14__hip_bfloat16EvPKT_PKiPT0_ll15HIP_vector_typeIjLj3EEmmmmmmmmm,"axG",@progbits,_ZL16k_get_rows_floatIf14__hip_bfloat16EvPKT_PKiPT0_ll15HIP_vector_typeIjLj3EEmmmmmmmmm,comdat
.Lfunc_end31:
	.size	_ZL16k_get_rows_floatIf14__hip_bfloat16EvPKT_PKiPT0_ll15HIP_vector_typeIjLj3EEmmmmmmmmm, .Lfunc_end31-_ZL16k_get_rows_floatIf14__hip_bfloat16EvPKT_PKiPT0_ll15HIP_vector_typeIjLj3EEmmmmmmmmm
                                        ; -- End function
	.section	.AMDGPU.csdata,"",@progbits
; Kernel info:
; codeLenInByte = 852
; NumSgprs: 48
; NumVgprs: 15
; ScratchSize: 0
; MemoryBound: 0
; FloatMode: 240
; IeeeMode: 1
; LDSByteSize: 0 bytes/workgroup (compile time only)
; SGPRBlocks: 5
; VGPRBlocks: 1
; NumSGPRsForWavesPerEU: 48
; NumVGPRsForWavesPerEU: 15
; Occupancy: 16
; WaveLimiterHint : 1
; COMPUTE_PGM_RSRC2:SCRATCH_EN: 0
; COMPUTE_PGM_RSRC2:USER_SGPR: 13
; COMPUTE_PGM_RSRC2:TRAP_HANDLER: 0
; COMPUTE_PGM_RSRC2:TGID_X_EN: 1
; COMPUTE_PGM_RSRC2:TGID_Y_EN: 1
; COMPUTE_PGM_RSRC2:TGID_Z_EN: 1
; COMPUTE_PGM_RSRC2:TIDIG_COMP_CNT: 0
	.section	.text._ZL16k_get_rows_floatIi14__hip_bfloat16EvPKT_PKiPT0_ll15HIP_vector_typeIjLj3EEmmmmmmmmm,"axG",@progbits,_ZL16k_get_rows_floatIi14__hip_bfloat16EvPKT_PKiPT0_ll15HIP_vector_typeIjLj3EEmmmmmmmmm,comdat
	.globl	_ZL16k_get_rows_floatIi14__hip_bfloat16EvPKT_PKiPT0_ll15HIP_vector_typeIjLj3EEmmmmmmmmm ; -- Begin function _ZL16k_get_rows_floatIi14__hip_bfloat16EvPKT_PKiPT0_ll15HIP_vector_typeIjLj3EEmmmmmmmmm
	.p2align	8
	.type	_ZL16k_get_rows_floatIi14__hip_bfloat16EvPKT_PKiPT0_ll15HIP_vector_typeIjLj3EEmmmmmmmmm,@function
_ZL16k_get_rows_floatIi14__hip_bfloat16EvPKT_PKiPT0_ll15HIP_vector_typeIjLj3EEmmmmmmmmm: ; @_ZL16k_get_rows_floatIi14__hip_bfloat16EvPKT_PKiPT0_ll15HIP_vector_typeIjLj3EEmmmmmmmmm
; %bb.0:
	s_clause 0x1
	s_load_b64 s[4:5], s[0:1], 0x20
	s_load_b64 s[34:35], s[0:1], 0x2c
	s_mov_b32 s2, s15
	s_mov_b32 s3, 0
	s_waitcnt lgkmcnt(0)
	s_mul_i32 s5, s35, s5
	s_mul_hi_u32 s6, s35, s4
	s_mul_i32 s36, s35, s4
	s_add_i32 s37, s6, s5
	s_delay_alu instid0(SALU_CYCLE_1) | instskip(NEXT) | instid1(VALU_DEP_1)
	v_cmp_le_i64_e64 s4, s[36:37], s[2:3]
	s_and_b32 vcc_lo, exec_lo, s4
	s_cbranch_vccnz .LBB32_10
; %bb.1:
	s_clause 0x4
	s_load_b64 s[38:39], s[0:1], 0x88
	s_load_b512 s[16:31], s[0:1], 0x38
	s_load_b64 s[40:41], s[0:1], 0x78
	s_load_b256 s[4:11], s[0:1], 0x0
	s_load_b32 s33, s[0:1], 0x28
	s_add_u32 s42, s0, 0x80
	s_addc_u32 s43, s1, 0
	s_ashr_i32 s1, s13, 31
	s_waitcnt lgkmcnt(0)
	s_and_b32 s39, s39, 0xffff
	s_mul_i32 s12, s13, s29
	s_mul_hi_u32 s15, s13, s28
	s_mul_i32 s29, s1, s28
	s_mul_i32 s44, s16, s1
	s_add_i32 s1, s15, s12
	v_mad_u64_u32 v[1:2], null, s14, s39, v[0:1]
	s_mul_i32 s0, s13, s28
	s_add_i32 s1, s1, s29
	v_mov_b32_e32 v2, 0
	s_lshl_b64 s[0:1], s[0:1], 2
	s_mul_hi_u32 s28, s16, s13
	s_mul_i32 s12, s16, s13
	s_add_u32 s16, s6, s0
	s_mul_i32 s45, s17, s13
	s_addc_u32 s17, s7, s1
	s_add_i32 s1, s28, s44
	v_lshlrev_b64 v[3:4], 1, v[1:2]
	s_add_i32 s13, s1, s45
	v_lshlrev_b64 v[5:6], 2, v[1:2]
	s_lshl_b64 s[6:7], s[12:13], 1
	v_cmp_gt_i64_e64 s0, s[10:11], v[1:2]
	s_add_u32 s1, s8, s6
	s_addc_u32 s6, s9, s7
	v_add_co_u32 v0, vcc_lo, s1, v3
	v_add_co_ci_u32_e32 v9, vcc_lo, s6, v4, vcc_lo
	v_add_co_u32 v10, vcc_lo, s4, v5
	v_add_co_ci_u32_e32 v11, vcc_lo, s5, v6, vcc_lo
	s_lshl_b64 s[4:5], s[18:19], 1
	s_lshl_b64 s[6:7], s[20:21], 1
	s_mov_b64 s[8:9], s[2:3]
	s_branch .LBB32_3
.LBB32_2:                               ;   in Loop: Header=BB32_3 Depth=1
	s_set_inst_prefetch_distance 0x2
	s_or_b32 exec_lo, exec_lo, s18
	s_add_u32 s8, s8, s38
	s_addc_u32 s9, s9, 0
	s_delay_alu instid0(SALU_CYCLE_1) | instskip(NEXT) | instid1(VALU_DEP_1)
	v_cmp_lt_i64_e64 s1, s[8:9], s[36:37]
	s_and_b32 vcc_lo, exec_lo, s1
	s_cbranch_vccz .LBB32_10
.LBB32_3:                               ; =>This Loop Header: Depth=1
                                        ;     Child Loop BB32_6 Depth 2
	s_and_saveexec_b32 s18, s0
	s_cbranch_execz .LBB32_2
; %bb.4:                                ;   in Loop: Header=BB32_3 Depth=1
	s_mul_hi_u32 s1, s8, s33
	v_dual_mov_b32 v8, v2 :: v_dual_mov_b32 v7, v1
	s_add_i32 s1, s1, s8
	s_delay_alu instid0(SALU_CYCLE_1) | instskip(NEXT) | instid1(SALU_CYCLE_1)
	s_lshr_b32 s1, s1, s34
	s_mul_i32 s2, s1, s35
	s_mul_i32 s12, s1, s31
	s_mul_hi_u32 s13, s1, s30
	s_ashr_i32 s19, s1, 31
	s_add_i32 s12, s13, s12
	s_mul_i32 s13, s19, s30
	s_sub_i32 s20, s8, s2
	s_add_i32 s13, s12, s13
	s_mul_i32 s2, s20, s41
	s_mul_hi_u32 s12, s20, s40
	s_ashr_i32 s21, s20, 31
	s_add_i32 s2, s12, s2
	s_mul_i32 s12, s1, s30
	s_mul_i32 s14, s21, s40
	s_lshl_b64 s[12:13], s[12:13], 2
	s_add_i32 s15, s2, s14
	s_mul_i32 s14, s20, s40
	s_add_u32 s2, s16, s12
	s_addc_u32 s28, s17, s13
	s_lshl_b64 s[12:13], s[14:15], 2
	s_mul_hi_u32 s14, s1, s24
	s_add_u32 s12, s2, s12
	s_addc_u32 s13, s28, s13
	s_load_b32 s2, s[42:43], 0x4
	s_load_b32 s12, s[12:13], 0x0
	s_mul_i32 s13, s1, s25
	s_mul_hi_u32 s28, s4, s1
	s_mul_i32 s44, s19, s24
	s_mul_i32 s19, s4, s19
	;; [unrolled: 1-line block ×3, first 2 shown]
	s_add_i32 s13, s14, s13
	s_add_i32 s14, s28, s19
	;; [unrolled: 1-line block ×4, first 2 shown]
	s_mul_i32 s15, s1, s24
	s_mul_i32 s1, s4, s1
	s_mul_i32 s44, s6, s20
	s_waitcnt lgkmcnt(0)
	s_mul_i32 s2, s2, s39
	s_mul_i32 s13, s12, s23
	s_mul_hi_u32 s28, s12, s22
	s_ashr_i32 s29, s12, 31
	s_add_i32 s13, s28, s13
	s_mul_i32 s29, s29, s22
	s_mul_i32 s28, s12, s22
	s_add_i32 s29, s13, s29
	s_mul_i32 s12, s6, s21
	s_mul_hi_u32 s13, s6, s20
	s_delay_alu instid0(SALU_CYCLE_1) | instskip(SKIP_1) | instid1(SALU_CYCLE_1)
	s_add_i32 s12, s13, s12
	s_mul_i32 s13, s7, s20
	s_add_i32 s12, s12, s13
	s_add_u32 s1, s1, s44
	s_addc_u32 s12, s14, s12
	v_add_co_u32 v3, vcc_lo, v0, s1
	v_add_co_ci_u32_e32 v4, vcc_lo, s12, v9, vcc_lo
	s_lshl_b64 s[12:13], s[2:3], 1
	s_add_u32 s1, s15, s28
	s_mul_i32 s14, s26, s21
	s_mul_hi_u32 s15, s26, s20
	s_addc_u32 s19, s19, s29
	s_add_i32 s14, s15, s14
	s_mul_i32 s15, s27, s20
	s_mul_i32 s20, s26, s20
	s_add_i32 s14, s14, s15
	s_add_u32 s1, s1, s20
	s_addc_u32 s14, s19, s14
	v_add_co_u32 v5, vcc_lo, v10, s1
	v_add_co_ci_u32_e32 v6, vcc_lo, s14, v11, vcc_lo
	s_lshl_b64 s[14:15], s[2:3], 2
	s_mov_b32 s19, 0
	s_set_inst_prefetch_distance 0x1
	s_branch .LBB32_6
	.p2align	6
.LBB32_5:                               ;   in Loop: Header=BB32_6 Depth=2
	s_or_b32 exec_lo, exec_lo, s1
	v_add_co_u32 v7, vcc_lo, v7, s2
	v_add_co_ci_u32_e32 v8, vcc_lo, 0, v8, vcc_lo
	global_store_d16_hi_b16 v[3:4], v13, off
	v_add_co_u32 v3, vcc_lo, v3, s12
	v_add_co_ci_u32_e32 v4, vcc_lo, s13, v4, vcc_lo
	v_cmp_le_i64_e32 vcc_lo, s[10:11], v[7:8]
	v_add_co_u32 v5, s1, v5, s14
	s_delay_alu instid0(VALU_DEP_1) | instskip(SKIP_1) | instid1(SALU_CYCLE_1)
	v_add_co_ci_u32_e64 v6, s1, s15, v6, s1
	s_or_b32 s19, vcc_lo, s19
	s_and_not1_b32 exec_lo, exec_lo, s19
	s_cbranch_execz .LBB32_2
.LBB32_6:                               ;   Parent Loop BB32_3 Depth=1
                                        ; =>  This Inner Loop Header: Depth=2
	global_load_b32 v12, v[5:6], off
	s_waitcnt vmcnt(0)
	v_cvt_f32_i32_e32 v12, v12
	s_delay_alu instid0(VALU_DEP_1) | instskip(NEXT) | instid1(VALU_DEP_1)
	v_and_b32_e32 v13, 0x7f800000, v12
	v_cmp_ne_u32_e32 vcc_lo, 0x7f800000, v13
                                        ; implicit-def: $vgpr13
	s_and_saveexec_b32 s1, vcc_lo
	s_delay_alu instid0(SALU_CYCLE_1)
	s_xor_b32 s1, exec_lo, s1
; %bb.7:                                ;   in Loop: Header=BB32_6 Depth=2
	v_bfe_u32 v13, v12, 16, 1
	s_delay_alu instid0(VALU_DEP_1)
	v_add3_u32 v13, v12, v13, 0x7fff
                                        ; implicit-def: $vgpr12
; %bb.8:                                ;   in Loop: Header=BB32_6 Depth=2
	s_and_not1_saveexec_b32 s1, s1
	s_cbranch_execz .LBB32_5
; %bb.9:                                ;   in Loop: Header=BB32_6 Depth=2
	v_and_b32_e32 v13, 0xffff, v12
	v_or_b32_e32 v14, 0x10000, v12
	s_delay_alu instid0(VALU_DEP_2) | instskip(NEXT) | instid1(VALU_DEP_2)
	v_cmp_eq_u32_e32 vcc_lo, 0, v13
	v_cndmask_b32_e32 v13, v14, v12, vcc_lo
	s_branch .LBB32_5
.LBB32_10:
	s_nop 0
	s_sendmsg sendmsg(MSG_DEALLOC_VGPRS)
	s_endpgm
	.section	.rodata,"a",@progbits
	.p2align	6, 0x0
	.amdhsa_kernel _ZL16k_get_rows_floatIi14__hip_bfloat16EvPKT_PKiPT0_ll15HIP_vector_typeIjLj3EEmmmmmmmmm
		.amdhsa_group_segment_fixed_size 0
		.amdhsa_private_segment_fixed_size 0
		.amdhsa_kernarg_size 384
		.amdhsa_user_sgpr_count 13
		.amdhsa_user_sgpr_dispatch_ptr 0
		.amdhsa_user_sgpr_queue_ptr 0
		.amdhsa_user_sgpr_kernarg_segment_ptr 1
		.amdhsa_user_sgpr_dispatch_id 0
		.amdhsa_user_sgpr_private_segment_size 0
		.amdhsa_wavefront_size32 1
		.amdhsa_uses_dynamic_stack 0
		.amdhsa_enable_private_segment 0
		.amdhsa_system_sgpr_workgroup_id_x 1
		.amdhsa_system_sgpr_workgroup_id_y 1
		.amdhsa_system_sgpr_workgroup_id_z 1
		.amdhsa_system_sgpr_workgroup_info 0
		.amdhsa_system_vgpr_workitem_id 0
		.amdhsa_next_free_vgpr 15
		.amdhsa_next_free_sgpr 46
		.amdhsa_reserve_vcc 1
		.amdhsa_float_round_mode_32 0
		.amdhsa_float_round_mode_16_64 0
		.amdhsa_float_denorm_mode_32 3
		.amdhsa_float_denorm_mode_16_64 3
		.amdhsa_dx10_clamp 1
		.amdhsa_ieee_mode 1
		.amdhsa_fp16_overflow 0
		.amdhsa_workgroup_processor_mode 1
		.amdhsa_memory_ordered 1
		.amdhsa_forward_progress 0
		.amdhsa_shared_vgpr_count 0
		.amdhsa_exception_fp_ieee_invalid_op 0
		.amdhsa_exception_fp_denorm_src 0
		.amdhsa_exception_fp_ieee_div_zero 0
		.amdhsa_exception_fp_ieee_overflow 0
		.amdhsa_exception_fp_ieee_underflow 0
		.amdhsa_exception_fp_ieee_inexact 0
		.amdhsa_exception_int_div_zero 0
	.end_amdhsa_kernel
	.section	.text._ZL16k_get_rows_floatIi14__hip_bfloat16EvPKT_PKiPT0_ll15HIP_vector_typeIjLj3EEmmmmmmmmm,"axG",@progbits,_ZL16k_get_rows_floatIi14__hip_bfloat16EvPKT_PKiPT0_ll15HIP_vector_typeIjLj3EEmmmmmmmmm,comdat
.Lfunc_end32:
	.size	_ZL16k_get_rows_floatIi14__hip_bfloat16EvPKT_PKiPT0_ll15HIP_vector_typeIjLj3EEmmmmmmmmm, .Lfunc_end32-_ZL16k_get_rows_floatIi14__hip_bfloat16EvPKT_PKiPT0_ll15HIP_vector_typeIjLj3EEmmmmmmmmm
                                        ; -- End function
	.section	.AMDGPU.csdata,"",@progbits
; Kernel info:
; codeLenInByte = 860
; NumSgprs: 48
; NumVgprs: 15
; ScratchSize: 0
; MemoryBound: 0
; FloatMode: 240
; IeeeMode: 1
; LDSByteSize: 0 bytes/workgroup (compile time only)
; SGPRBlocks: 5
; VGPRBlocks: 1
; NumSGPRsForWavesPerEU: 48
; NumVGPRsForWavesPerEU: 15
; Occupancy: 16
; WaveLimiterHint : 1
; COMPUTE_PGM_RSRC2:SCRATCH_EN: 0
; COMPUTE_PGM_RSRC2:USER_SGPR: 13
; COMPUTE_PGM_RSRC2:TRAP_HANDLER: 0
; COMPUTE_PGM_RSRC2:TGID_X_EN: 1
; COMPUTE_PGM_RSRC2:TGID_Y_EN: 1
; COMPUTE_PGM_RSRC2:TGID_Z_EN: 1
; COMPUTE_PGM_RSRC2:TIDIG_COMP_CNT: 0
	.section	.text._ZL16k_get_rows_floatI14__hip_bfloat16S0_EvPKT_PKiPT0_ll15HIP_vector_typeIjLj3EEmmmmmmmmm,"axG",@progbits,_ZL16k_get_rows_floatI14__hip_bfloat16S0_EvPKT_PKiPT0_ll15HIP_vector_typeIjLj3EEmmmmmmmmm,comdat
	.globl	_ZL16k_get_rows_floatI14__hip_bfloat16S0_EvPKT_PKiPT0_ll15HIP_vector_typeIjLj3EEmmmmmmmmm ; -- Begin function _ZL16k_get_rows_floatI14__hip_bfloat16S0_EvPKT_PKiPT0_ll15HIP_vector_typeIjLj3EEmmmmmmmmm
	.p2align	8
	.type	_ZL16k_get_rows_floatI14__hip_bfloat16S0_EvPKT_PKiPT0_ll15HIP_vector_typeIjLj3EEmmmmmmmmm,@function
_ZL16k_get_rows_floatI14__hip_bfloat16S0_EvPKT_PKiPT0_ll15HIP_vector_typeIjLj3EEmmmmmmmmm: ; @_ZL16k_get_rows_floatI14__hip_bfloat16S0_EvPKT_PKiPT0_ll15HIP_vector_typeIjLj3EEmmmmmmmmm
; %bb.0:
	s_clause 0x1
	s_load_b64 s[4:5], s[0:1], 0x20
	s_load_b64 s[34:35], s[0:1], 0x2c
	s_mov_b32 s2, s15
	s_mov_b32 s3, 0
	s_waitcnt lgkmcnt(0)
	s_mul_i32 s5, s35, s5
	s_mul_hi_u32 s6, s35, s4
	s_mul_i32 s36, s35, s4
	s_add_i32 s37, s6, s5
	s_delay_alu instid0(SALU_CYCLE_1) | instskip(NEXT) | instid1(VALU_DEP_1)
	v_cmp_le_i64_e64 s4, s[36:37], s[2:3]
	s_and_b32 vcc_lo, exec_lo, s4
	s_cbranch_vccnz .LBB33_6
; %bb.1:
	s_clause 0x4
	s_load_b64 s[38:39], s[0:1], 0x88
	s_load_b512 s[16:31], s[0:1], 0x38
	s_load_b256 s[4:11], s[0:1], 0x0
	s_load_b64 s[40:41], s[0:1], 0x78
	s_load_b32 s33, s[0:1], 0x28
	s_add_u32 s42, s0, 0x80
	s_addc_u32 s43, s1, 0
	s_ashr_i32 s1, s13, 31
	s_waitcnt lgkmcnt(0)
	s_and_b32 s39, s39, 0xffff
	s_mul_i32 s12, s13, s29
	s_mul_hi_u32 s15, s13, s28
	s_mul_i32 s29, s1, s28
	s_mul_i32 s45, s16, s1
	s_add_i32 s1, s15, s12
	v_mad_u64_u32 v[1:2], null, s14, s39, v[0:1]
	s_mul_i32 s0, s13, s28
	s_add_i32 s1, s1, s29
	v_mov_b32_e32 v2, 0
	s_lshl_b64 s[0:1], s[0:1], 2
	s_mul_hi_u32 s44, s16, s13
	s_mul_i32 s12, s17, s13
	s_add_u32 s17, s6, s0
	s_addc_u32 s28, s7, s1
	s_add_i32 s1, s44, s45
	s_mul_i32 s0, s16, s13
	s_add_i32 s1, s1, s12
	v_lshlrev_b64 v[3:4], 1, v[1:2]
	s_lshl_b64 s[6:7], s[0:1], 1
	v_cmp_gt_i64_e64 s0, s[10:11], v[1:2]
	s_add_u32 s1, s8, s6
	s_addc_u32 s6, s9, s7
	s_mov_b64 s[8:9], s[2:3]
	v_add_co_u32 v0, vcc_lo, s1, v3
	v_add_co_ci_u32_e32 v5, vcc_lo, s6, v4, vcc_lo
	v_add_co_u32 v6, vcc_lo, s4, v3
	v_add_co_ci_u32_e32 v7, vcc_lo, s5, v4, vcc_lo
	s_lshl_b64 s[4:5], s[18:19], 1
	s_lshl_b64 s[6:7], s[20:21], 1
	s_branch .LBB33_3
.LBB33_2:                               ;   in Loop: Header=BB33_3 Depth=1
	s_or_b32 exec_lo, exec_lo, s16
	s_add_u32 s8, s8, s38
	s_addc_u32 s9, s9, 0
	s_delay_alu instid0(SALU_CYCLE_1) | instskip(NEXT) | instid1(VALU_DEP_1)
	v_cmp_lt_i64_e64 s1, s[8:9], s[36:37]
	s_and_b32 vcc_lo, exec_lo, s1
	s_cbranch_vccz .LBB33_6
.LBB33_3:                               ; =>This Loop Header: Depth=1
                                        ;     Child Loop BB33_5 Depth 2
	s_and_saveexec_b32 s16, s0
	s_cbranch_execz .LBB33_2
; %bb.4:                                ;   in Loop: Header=BB33_3 Depth=1
	s_mul_hi_u32 s1, s8, s33
	v_dual_mov_b32 v4, v2 :: v_dual_mov_b32 v3, v1
	s_add_i32 s1, s1, s8
	s_delay_alu instid0(SALU_CYCLE_1) | instskip(NEXT) | instid1(SALU_CYCLE_1)
	s_lshr_b32 s1, s1, s34
	s_mul_i32 s2, s1, s35
	s_mul_i32 s12, s1, s31
	s_mul_hi_u32 s13, s1, s30
	s_ashr_i32 s18, s1, 31
	s_add_i32 s12, s13, s12
	s_mul_i32 s13, s18, s30
	s_sub_i32 s19, s8, s2
	s_add_i32 s13, s12, s13
	s_mul_i32 s2, s19, s41
	s_mul_hi_u32 s12, s19, s40
	s_ashr_i32 s20, s19, 31
	s_add_i32 s2, s12, s2
	s_mul_i32 s12, s1, s30
	s_mul_i32 s14, s20, s40
	s_lshl_b64 s[12:13], s[12:13], 2
	s_add_i32 s15, s2, s14
	s_mul_i32 s14, s19, s40
	s_add_u32 s2, s17, s12
	s_addc_u32 s21, s28, s13
	s_lshl_b64 s[12:13], s[14:15], 2
	s_mul_hi_u32 s14, s1, s24
	s_add_u32 s12, s2, s12
	s_addc_u32 s13, s21, s13
	s_load_b32 s2, s[42:43], 0x4
	s_load_b32 s12, s[12:13], 0x0
	s_mul_i32 s13, s1, s25
	s_mul_hi_u32 s21, s4, s1
	s_mul_i32 s44, s18, s24
	s_mul_i32 s18, s4, s18
	;; [unrolled: 1-line block ×3, first 2 shown]
	s_add_i32 s13, s14, s13
	s_add_i32 s14, s21, s18
	;; [unrolled: 1-line block ×4, first 2 shown]
	s_mul_i32 s15, s1, s24
	s_mul_i32 s1, s4, s1
	;; [unrolled: 1-line block ×3, first 2 shown]
	s_waitcnt lgkmcnt(0)
	s_mul_i32 s2, s2, s39
	s_mul_i32 s13, s12, s23
	s_mul_hi_u32 s21, s12, s22
	s_ashr_i32 s29, s12, 31
	s_add_i32 s13, s21, s13
	s_mul_i32 s29, s29, s22
	s_mul_i32 s21, s12, s22
	s_add_i32 s29, s13, s29
	s_mul_i32 s12, s6, s20
	s_mul_hi_u32 s13, s6, s19
	s_delay_alu instid0(SALU_CYCLE_1) | instskip(SKIP_1) | instid1(SALU_CYCLE_1)
	s_add_i32 s12, s13, s12
	s_mul_i32 s13, s7, s19
	s_add_i32 s12, s12, s13
	s_add_u32 s1, s1, s44
	s_addc_u32 s12, s14, s12
	v_add_co_u32 v8, vcc_lo, v0, s1
	v_add_co_ci_u32_e32 v9, vcc_lo, s12, v5, vcc_lo
	s_lshl_b64 s[12:13], s[2:3], 1
	s_add_u32 s1, s15, s21
	s_mul_i32 s14, s26, s20
	s_mul_hi_u32 s15, s26, s19
	s_addc_u32 s18, s18, s29
	s_add_i32 s14, s15, s14
	s_mul_i32 s15, s27, s19
	s_mul_i32 s19, s26, s19
	s_add_i32 s14, s14, s15
	s_add_u32 s1, s1, s19
	s_addc_u32 s14, s18, s14
	v_add_co_u32 v10, vcc_lo, v6, s1
	v_add_co_ci_u32_e32 v11, vcc_lo, s14, v7, vcc_lo
	s_mov_b64 s[14:15], 0
	s_mov_b32 s18, 0
	.p2align	6
.LBB33_5:                               ;   Parent Loop BB33_3 Depth=1
                                        ; =>  This Inner Loop Header: Depth=2
	s_delay_alu instid0(VALU_DEP_2) | instskip(NEXT) | instid1(VALU_DEP_2)
	v_add_co_u32 v12, vcc_lo, v10, s14
	v_add_co_ci_u32_e32 v13, vcc_lo, s15, v11, vcc_lo
	v_add_co_u32 v3, vcc_lo, v3, s2
	v_add_co_ci_u32_e32 v4, vcc_lo, 0, v4, vcc_lo
	global_load_u16 v14, v[12:13], off
	v_add_co_u32 v12, s1, v8, s14
	v_cmp_le_i64_e32 vcc_lo, s[10:11], v[3:4]
	v_add_co_ci_u32_e64 v13, s1, s15, v9, s1
	s_add_u32 s14, s14, s12
	s_addc_u32 s15, s15, s13
	s_or_b32 s18, vcc_lo, s18
	s_waitcnt vmcnt(0)
	global_store_b16 v[12:13], v14, off
	s_and_not1_b32 exec_lo, exec_lo, s18
	s_cbranch_execnz .LBB33_5
	s_branch .LBB33_2
.LBB33_6:
	s_nop 0
	s_sendmsg sendmsg(MSG_DEALLOC_VGPRS)
	s_endpgm
	.section	.rodata,"a",@progbits
	.p2align	6, 0x0
	.amdhsa_kernel _ZL16k_get_rows_floatI14__hip_bfloat16S0_EvPKT_PKiPT0_ll15HIP_vector_typeIjLj3EEmmmmmmmmm
		.amdhsa_group_segment_fixed_size 0
		.amdhsa_private_segment_fixed_size 0
		.amdhsa_kernarg_size 384
		.amdhsa_user_sgpr_count 13
		.amdhsa_user_sgpr_dispatch_ptr 0
		.amdhsa_user_sgpr_queue_ptr 0
		.amdhsa_user_sgpr_kernarg_segment_ptr 1
		.amdhsa_user_sgpr_dispatch_id 0
		.amdhsa_user_sgpr_private_segment_size 0
		.amdhsa_wavefront_size32 1
		.amdhsa_uses_dynamic_stack 0
		.amdhsa_enable_private_segment 0
		.amdhsa_system_sgpr_workgroup_id_x 1
		.amdhsa_system_sgpr_workgroup_id_y 1
		.amdhsa_system_sgpr_workgroup_id_z 1
		.amdhsa_system_sgpr_workgroup_info 0
		.amdhsa_system_vgpr_workitem_id 0
		.amdhsa_next_free_vgpr 15
		.amdhsa_next_free_sgpr 46
		.amdhsa_reserve_vcc 1
		.amdhsa_float_round_mode_32 0
		.amdhsa_float_round_mode_16_64 0
		.amdhsa_float_denorm_mode_32 3
		.amdhsa_float_denorm_mode_16_64 3
		.amdhsa_dx10_clamp 1
		.amdhsa_ieee_mode 1
		.amdhsa_fp16_overflow 0
		.amdhsa_workgroup_processor_mode 1
		.amdhsa_memory_ordered 1
		.amdhsa_forward_progress 0
		.amdhsa_shared_vgpr_count 0
		.amdhsa_exception_fp_ieee_invalid_op 0
		.amdhsa_exception_fp_denorm_src 0
		.amdhsa_exception_fp_ieee_div_zero 0
		.amdhsa_exception_fp_ieee_overflow 0
		.amdhsa_exception_fp_ieee_underflow 0
		.amdhsa_exception_fp_ieee_inexact 0
		.amdhsa_exception_int_div_zero 0
	.end_amdhsa_kernel
	.section	.text._ZL16k_get_rows_floatI14__hip_bfloat16S0_EvPKT_PKiPT0_ll15HIP_vector_typeIjLj3EEmmmmmmmmm,"axG",@progbits,_ZL16k_get_rows_floatI14__hip_bfloat16S0_EvPKT_PKiPT0_ll15HIP_vector_typeIjLj3EEmmmmmmmmm,comdat
.Lfunc_end33:
	.size	_ZL16k_get_rows_floatI14__hip_bfloat16S0_EvPKT_PKiPT0_ll15HIP_vector_typeIjLj3EEmmmmmmmmm, .Lfunc_end33-_ZL16k_get_rows_floatI14__hip_bfloat16S0_EvPKT_PKiPT0_ll15HIP_vector_typeIjLj3EEmmmmmmmmm
                                        ; -- End function
	.section	.AMDGPU.csdata,"",@progbits
; Kernel info:
; codeLenInByte = 748
; NumSgprs: 48
; NumVgprs: 15
; ScratchSize: 0
; MemoryBound: 0
; FloatMode: 240
; IeeeMode: 1
; LDSByteSize: 0 bytes/workgroup (compile time only)
; SGPRBlocks: 5
; VGPRBlocks: 1
; NumSGPRsForWavesPerEU: 48
; NumVGPRsForWavesPerEU: 15
; Occupancy: 16
; WaveLimiterHint : 1
; COMPUTE_PGM_RSRC2:SCRATCH_EN: 0
; COMPUTE_PGM_RSRC2:USER_SGPR: 13
; COMPUTE_PGM_RSRC2:TRAP_HANDLER: 0
; COMPUTE_PGM_RSRC2:TGID_X_EN: 1
; COMPUTE_PGM_RSRC2:TGID_Y_EN: 1
; COMPUTE_PGM_RSRC2:TGID_Z_EN: 1
; COMPUTE_PGM_RSRC2:TIDIG_COMP_CNT: 0
	.section	.text._ZL10k_get_rowsILi128ELi1EXadL_ZL15dequantize_q1_0PKvliR15HIP_vector_typeIfLj2EEEE14__hip_bfloat16EvS1_PKiPT2_llS2_IjLj3EEmmmmmmmmm,"axG",@progbits,_ZL10k_get_rowsILi128ELi1EXadL_ZL15dequantize_q1_0PKvliR15HIP_vector_typeIfLj2EEEE14__hip_bfloat16EvS1_PKiPT2_llS2_IjLj3EEmmmmmmmmm,comdat
	.globl	_ZL10k_get_rowsILi128ELi1EXadL_ZL15dequantize_q1_0PKvliR15HIP_vector_typeIfLj2EEEE14__hip_bfloat16EvS1_PKiPT2_llS2_IjLj3EEmmmmmmmmm ; -- Begin function _ZL10k_get_rowsILi128ELi1EXadL_ZL15dequantize_q1_0PKvliR15HIP_vector_typeIfLj2EEEE14__hip_bfloat16EvS1_PKiPT2_llS2_IjLj3EEmmmmmmmmm
	.p2align	8
	.type	_ZL10k_get_rowsILi128ELi1EXadL_ZL15dequantize_q1_0PKvliR15HIP_vector_typeIfLj2EEEE14__hip_bfloat16EvS1_PKiPT2_llS2_IjLj3EEmmmmmmmmm,@function
_ZL10k_get_rowsILi128ELi1EXadL_ZL15dequantize_q1_0PKvliR15HIP_vector_typeIfLj2EEEE14__hip_bfloat16EvS1_PKiPT2_llS2_IjLj3EEmmmmmmmmm: ; @_ZL10k_get_rowsILi128ELi1EXadL_ZL15dequantize_q1_0PKvliR15HIP_vector_typeIfLj2EEEE14__hip_bfloat16EvS1_PKiPT2_llS2_IjLj3EEmmmmmmmmm
; %bb.0:
	s_clause 0x1
	s_load_b128 s[4:7], s[0:1], 0x18
	s_load_b64 s[34:35], s[0:1], 0x2c
	s_mov_b32 s2, s15
	s_mov_b32 s3, 0
	s_waitcnt lgkmcnt(0)
	s_mul_i32 s7, s35, s7
	s_mul_hi_u32 s8, s35, s6
	s_mul_i32 s6, s35, s6
	s_add_i32 s7, s8, s7
	s_delay_alu instid0(SALU_CYCLE_1) | instskip(NEXT) | instid1(VALU_DEP_1)
	v_cmp_le_i64_e64 s8, s[6:7], s[2:3]
	s_and_b32 vcc_lo, exec_lo, s8
	s_cbranch_vccnz .LBB34_14
; %bb.1:
	s_clause 0x5
	s_load_b64 s[36:37], s[0:1], 0x88
	s_load_b512 s[16:31], s[0:1], 0x38
	s_load_b64 s[38:39], s[0:1], 0x78
	s_load_b128 s[8:11], s[0:1], 0x0
	s_load_b64 s[42:43], s[0:1], 0x10
	s_load_b32 s33, s[0:1], 0x28
	s_add_u32 s40, s0, 0x80
	s_addc_u32 s41, s1, 0
	s_ashr_i32 s1, s13, 31
	v_mov_b32_e32 v1, 0
	s_waitcnt lgkmcnt(0)
	s_and_b32 s37, s37, 0xffff
	s_mul_i32 s12, s13, s29
	s_mul_hi_u32 s15, s13, s28
	s_mul_i32 s29, s1, s28
	s_mul_i32 s45, s1, s16
	s_add_i32 s1, s15, s12
	s_mul_i32 s0, s13, s28
	s_add_i32 s1, s1, s29
	s_mul_i32 s14, s14, s37
	s_lshl_b64 s[0:1], s[0:1], 2
	s_mul_i32 s28, s13, s17
	s_mul_hi_u32 s44, s13, s16
	v_add_lshl_u32 v0, s14, v0, 1
	s_mul_i32 s12, s13, s16
	s_add_u32 s16, s10, s0
	s_addc_u32 s17, s11, s1
	s_add_i32 s1, s44, s28
	v_cmp_gt_i64_e64 s0, s[4:5], v[0:1]
	s_add_i32 s13, s1, s45
	v_lshlrev_b64 v[4:5], 25, v[0:1]
	v_dual_mov_b32 v2, v1 :: v_dual_mov_b32 v3, v0
	s_lshl_b64 s[10:11], s[12:13], 1
	s_delay_alu instid0(SALU_CYCLE_1)
	s_add_u32 s28, s42, s10
	s_addc_u32 s29, s43, s11
	s_mov_b64 s[10:11], s[2:3]
	s_branch .LBB34_3
.LBB34_2:                               ;   in Loop: Header=BB34_3 Depth=1
	s_or_b32 exec_lo, exec_lo, s42
	s_add_u32 s10, s10, s36
	s_addc_u32 s11, s11, 0
	s_delay_alu instid0(SALU_CYCLE_1) | instskip(NEXT) | instid1(VALU_DEP_1)
	v_cmp_ge_i64_e64 s1, s[10:11], s[6:7]
	s_and_b32 vcc_lo, exec_lo, s1
	s_cbranch_vccnz .LBB34_14
.LBB34_3:                               ; =>This Loop Header: Depth=1
                                        ;     Child Loop BB34_6 Depth 2
	s_and_saveexec_b32 s42, s0
	s_cbranch_execz .LBB34_2
; %bb.4:                                ;   in Loop: Header=BB34_3 Depth=1
	s_mul_hi_u32 s1, s10, s33
	v_dual_mov_b32 v7, v3 :: v_dual_mov_b32 v6, v2
	s_add_i32 s1, s1, s10
	v_dual_mov_b32 v9, v5 :: v_dual_mov_b32 v8, v4
	s_lshr_b32 s1, s1, s34
	v_dual_mov_b32 v11, v1 :: v_dual_mov_b32 v10, v0
	s_mul_i32 s2, s1, s35
	s_mul_i32 s12, s1, s31
	s_mul_hi_u32 s13, s1, s30
	s_ashr_i32 s45, s1, 31
	s_add_i32 s12, s13, s12
	s_mul_i32 s13, s45, s30
	s_sub_i32 s2, s10, s2
	s_add_i32 s13, s12, s13
	s_mul_i32 s12, s2, s39
	s_mul_hi_u32 s14, s2, s38
	s_ashr_i32 s46, s2, 31
	s_add_i32 s14, s14, s12
	s_mul_i32 s12, s1, s30
	s_mul_i32 s15, s46, s38
	s_lshl_b64 s[12:13], s[12:13], 2
	s_add_i32 s15, s14, s15
	s_mul_i32 s14, s2, s38
	s_add_u32 s43, s16, s12
	s_addc_u32 s44, s17, s13
	s_lshl_b64 s[12:13], s[14:15], 2
	s_mul_hi_u32 s14, s1, s18
	s_add_u32 s12, s43, s12
	s_addc_u32 s13, s44, s13
	s_load_b32 s47, s[12:13], 0x0
	s_load_b32 s48, s[40:41], 0x4
	s_mul_i32 s13, s1, s19
	s_mul_i32 s15, s45, s18
	s_add_i32 s13, s14, s13
	s_mul_i32 s12, s1, s18
	s_add_i32 s13, s13, s15
	s_mul_i32 s43, s2, s21
	s_lshl_b64 s[12:13], s[12:13], 1
	s_mul_hi_u32 s44, s2, s20
	s_mul_i32 s15, s46, s20
	s_mul_i32 s14, s2, s20
	;; [unrolled: 1-line block ×5, first 2 shown]
	s_waitcnt lgkmcnt(0)
	s_ashr_i32 s50, s47, 31
	s_add_u32 s51, s28, s12
	s_addc_u32 s52, s29, s13
	s_add_i32 s12, s44, s43
	s_mul_i32 s53, s47, s23
	s_add_i32 s15, s12, s15
	s_mul_hi_u32 s54, s47, s22
	s_lshl_b64 s[12:13], s[14:15], 1
	s_mul_i32 s50, s50, s22
	s_add_u32 s43, s51, s12
	s_addc_u32 s44, s52, s13
	s_add_i32 s12, s54, s53
	s_mul_i32 s47, s47, s22
	s_add_i32 s12, s12, s50
	s_mul_hi_u32 s14, s1, s24
	s_add_u32 s13, s8, s47
	s_addc_u32 s12, s9, s12
	s_add_i32 s14, s14, s49
	s_mul_i32 s1, s1, s24
	s_add_i32 s14, s14, s45
	s_add_u32 s1, s13, s1
	s_mul_i32 s13, s2, s27
	s_mul_hi_u32 s15, s2, s26
	s_addc_u32 s14, s12, s14
	s_add_i32 s12, s15, s13
	s_mul_i32 s2, s2, s26
	s_add_i32 s13, s12, s46
	s_add_u32 s12, s1, s2
	s_mul_i32 s2, s48, s37
	s_addc_u32 s13, s14, s13
	s_lshl_b64 s[14:15], s[2:3], 25
	s_mov_b32 s45, 0
	s_mov_b32 s46, s2
	s_branch .LBB34_6
.LBB34_5:                               ;   in Loop: Header=BB34_6 Depth=2
	s_or_b32 exec_lo, exec_lo, s1
	v_add_co_u32 v10, vcc_lo, v10, s2
	v_add_co_ci_u32_e32 v11, vcc_lo, 0, v11, vcc_lo
	v_add_co_u32 v8, vcc_lo, v8, s14
	v_add_co_ci_u32_e32 v9, vcc_lo, s15, v9, vcc_lo
	s_delay_alu instid0(VALU_DEP_3) | instskip(SKIP_1) | instid1(VALU_DEP_1)
	v_cmp_le_i64_e32 vcc_lo, s[4:5], v[10:11]
	v_add_co_u32 v6, s1, v6, 0
	v_add_co_ci_u32_e64 v7, s1, s46, v7, s1
	global_store_d16_hi_b16 v[12:13], v14, off offset:2
	s_or_b32 s45, vcc_lo, s45
	s_delay_alu instid0(SALU_CYCLE_1)
	s_and_not1_b32 exec_lo, exec_lo, s45
	s_cbranch_execz .LBB34_2
.LBB34_6:                               ;   Parent Loop BB34_3 Depth=1
                                        ; =>  This Inner Loop Header: Depth=2
	v_mad_i64_i32 v[13:14], null, v9, 18, s[12:13]
	v_bfe_u32 v12, v10, 3, 4
	s_delay_alu instid0(VALU_DEP_1) | instskip(NEXT) | instid1(VALU_DEP_3)
	v_add_co_u32 v15, vcc_lo, v13, v12
	v_add_co_ci_u32_e32 v16, vcc_lo, 0, v14, vcc_lo
	v_and_b32_e32 v12, 0x7f, v10
	s_clause 0x1
	global_load_u8 v15, v[15:16], off offset:2
	global_load_u16 v16, v[13:14], off
	v_add_nc_u32_e32 v12, 1, v12
	s_delay_alu instid0(VALU_DEP_1) | instskip(NEXT) | instid1(VALU_DEP_1)
	v_lshrrev_b32_e32 v17, 3, v12
	v_add_co_u32 v13, vcc_lo, v13, v17
	v_add_co_ci_u32_e32 v14, vcc_lo, 0, v14, vcc_lo
	global_load_u8 v14, v[13:14], off offset:2
	v_and_b32_e32 v13, 7, v10
	s_waitcnt vmcnt(2)
	s_delay_alu instid0(VALU_DEP_1) | instskip(NEXT) | instid1(VALU_DEP_1)
	v_lshrrev_b32_e32 v13, v13, v15
	v_lshlrev_b32_e32 v13, 1, v13
	s_delay_alu instid0(VALU_DEP_1) | instskip(NEXT) | instid1(VALU_DEP_1)
	v_and_b32_e32 v13, 2, v13
	v_add_nc_u32_e32 v15, -1, v13
	s_waitcnt vmcnt(1)
	v_cvt_f32_f16_e32 v13, v16
	s_delay_alu instid0(VALU_DEP_2) | instskip(NEXT) | instid1(VALU_DEP_1)
	v_cvt_f32_i32_e32 v15, v15
	v_mul_f32_e32 v16, v13, v15
	s_delay_alu instid0(VALU_DEP_1) | instskip(NEXT) | instid1(VALU_DEP_1)
	v_and_b32_e32 v15, 0x7f800000, v16
	v_cmp_ne_u32_e32 vcc_lo, 0x7f800000, v15
                                        ; implicit-def: $vgpr15
	s_and_saveexec_b32 s1, vcc_lo
	s_delay_alu instid0(SALU_CYCLE_1)
	s_xor_b32 s1, exec_lo, s1
; %bb.7:                                ;   in Loop: Header=BB34_6 Depth=2
	v_bfe_u32 v15, v16, 16, 1
	s_delay_alu instid0(VALU_DEP_1)
	v_add3_u32 v15, v16, v15, 0x7fff
                                        ; implicit-def: $vgpr16
; %bb.8:                                ;   in Loop: Header=BB34_6 Depth=2
	s_and_not1_saveexec_b32 s1, s1
; %bb.9:                                ;   in Loop: Header=BB34_6 Depth=2
	v_and_b32_e32 v15, 0xffff, v16
	v_or_b32_e32 v17, 0x10000, v16
	s_delay_alu instid0(VALU_DEP_2) | instskip(NEXT) | instid1(VALU_DEP_2)
	v_cmp_eq_u32_e32 vcc_lo, 0, v15
	v_cndmask_b32_e32 v15, v17, v16, vcc_lo
; %bb.10:                               ;   in Loop: Header=BB34_6 Depth=2
	s_or_b32 exec_lo, exec_lo, s1
	s_waitcnt vmcnt(0)
	v_and_b32_e32 v14, 0xff, v14
	v_and_b32_e32 v12, 7, v12
	s_delay_alu instid0(VALU_DEP_1) | instskip(NEXT) | instid1(VALU_DEP_1)
	v_lshrrev_b32_e32 v12, v12, v14
	v_lshlrev_b32_e32 v12, 1, v12
	s_delay_alu instid0(VALU_DEP_1) | instskip(NEXT) | instid1(VALU_DEP_1)
	v_and_b32_e32 v12, 2, v12
	v_add_nc_u32_e32 v12, -1, v12
	s_delay_alu instid0(VALU_DEP_1) | instskip(NEXT) | instid1(VALU_DEP_1)
	v_cvt_f32_i32_e32 v12, v12
	v_mul_f32_e32 v16, v13, v12
	v_ashrrev_i64 v[12:13], 31, v[6:7]
	s_delay_alu instid0(VALU_DEP_2) | instskip(NEXT) | instid1(VALU_DEP_2)
	v_and_b32_e32 v14, 0x7f800000, v16
	v_add_co_u32 v12, vcc_lo, s43, v12
	s_delay_alu instid0(VALU_DEP_3) | instskip(NEXT) | instid1(VALU_DEP_3)
	v_add_co_ci_u32_e32 v13, vcc_lo, s44, v13, vcc_lo
	v_cmp_ne_u32_e32 vcc_lo, 0x7f800000, v14
                                        ; implicit-def: $vgpr14
	global_store_d16_hi_b16 v[12:13], v15, off
	s_and_saveexec_b32 s1, vcc_lo
	s_delay_alu instid0(SALU_CYCLE_1)
	s_xor_b32 s1, exec_lo, s1
; %bb.11:                               ;   in Loop: Header=BB34_6 Depth=2
	v_bfe_u32 v14, v16, 16, 1
	s_delay_alu instid0(VALU_DEP_1)
	v_add3_u32 v14, v16, v14, 0x7fff
                                        ; implicit-def: $vgpr16
; %bb.12:                               ;   in Loop: Header=BB34_6 Depth=2
	s_and_not1_saveexec_b32 s1, s1
	s_cbranch_execz .LBB34_5
; %bb.13:                               ;   in Loop: Header=BB34_6 Depth=2
	v_and_b32_e32 v14, 0xffff, v16
	v_or_b32_e32 v15, 0x10000, v16
	s_delay_alu instid0(VALU_DEP_2) | instskip(NEXT) | instid1(VALU_DEP_2)
	v_cmp_eq_u32_e32 vcc_lo, 0, v14
	v_cndmask_b32_e32 v14, v15, v16, vcc_lo
	s_branch .LBB34_5
.LBB34_14:
	s_nop 0
	s_sendmsg sendmsg(MSG_DEALLOC_VGPRS)
	s_endpgm
	.section	.rodata,"a",@progbits
	.p2align	6, 0x0
	.amdhsa_kernel _ZL10k_get_rowsILi128ELi1EXadL_ZL15dequantize_q1_0PKvliR15HIP_vector_typeIfLj2EEEE14__hip_bfloat16EvS1_PKiPT2_llS2_IjLj3EEmmmmmmmmm
		.amdhsa_group_segment_fixed_size 0
		.amdhsa_private_segment_fixed_size 0
		.amdhsa_kernarg_size 384
		.amdhsa_user_sgpr_count 13
		.amdhsa_user_sgpr_dispatch_ptr 0
		.amdhsa_user_sgpr_queue_ptr 0
		.amdhsa_user_sgpr_kernarg_segment_ptr 1
		.amdhsa_user_sgpr_dispatch_id 0
		.amdhsa_user_sgpr_private_segment_size 0
		.amdhsa_wavefront_size32 1
		.amdhsa_uses_dynamic_stack 0
		.amdhsa_enable_private_segment 0
		.amdhsa_system_sgpr_workgroup_id_x 1
		.amdhsa_system_sgpr_workgroup_id_y 1
		.amdhsa_system_sgpr_workgroup_id_z 1
		.amdhsa_system_sgpr_workgroup_info 0
		.amdhsa_system_vgpr_workitem_id 0
		.amdhsa_next_free_vgpr 18
		.amdhsa_next_free_sgpr 55
		.amdhsa_reserve_vcc 1
		.amdhsa_float_round_mode_32 0
		.amdhsa_float_round_mode_16_64 0
		.amdhsa_float_denorm_mode_32 3
		.amdhsa_float_denorm_mode_16_64 3
		.amdhsa_dx10_clamp 1
		.amdhsa_ieee_mode 1
		.amdhsa_fp16_overflow 0
		.amdhsa_workgroup_processor_mode 1
		.amdhsa_memory_ordered 1
		.amdhsa_forward_progress 0
		.amdhsa_shared_vgpr_count 0
		.amdhsa_exception_fp_ieee_invalid_op 0
		.amdhsa_exception_fp_denorm_src 0
		.amdhsa_exception_fp_ieee_div_zero 0
		.amdhsa_exception_fp_ieee_overflow 0
		.amdhsa_exception_fp_ieee_underflow 0
		.amdhsa_exception_fp_ieee_inexact 0
		.amdhsa_exception_int_div_zero 0
	.end_amdhsa_kernel
	.section	.text._ZL10k_get_rowsILi128ELi1EXadL_ZL15dequantize_q1_0PKvliR15HIP_vector_typeIfLj2EEEE14__hip_bfloat16EvS1_PKiPT2_llS2_IjLj3EEmmmmmmmmm,"axG",@progbits,_ZL10k_get_rowsILi128ELi1EXadL_ZL15dequantize_q1_0PKvliR15HIP_vector_typeIfLj2EEEE14__hip_bfloat16EvS1_PKiPT2_llS2_IjLj3EEmmmmmmmmm,comdat
.Lfunc_end34:
	.size	_ZL10k_get_rowsILi128ELi1EXadL_ZL15dequantize_q1_0PKvliR15HIP_vector_typeIfLj2EEEE14__hip_bfloat16EvS1_PKiPT2_llS2_IjLj3EEmmmmmmmmm, .Lfunc_end34-_ZL10k_get_rowsILi128ELi1EXadL_ZL15dequantize_q1_0PKvliR15HIP_vector_typeIfLj2EEEE14__hip_bfloat16EvS1_PKiPT2_llS2_IjLj3EEmmmmmmmmm
                                        ; -- End function
	.section	.AMDGPU.csdata,"",@progbits
; Kernel info:
; codeLenInByte = 1152
; NumSgprs: 57
; NumVgprs: 18
; ScratchSize: 0
; MemoryBound: 0
; FloatMode: 240
; IeeeMode: 1
; LDSByteSize: 0 bytes/workgroup (compile time only)
; SGPRBlocks: 7
; VGPRBlocks: 2
; NumSGPRsForWavesPerEU: 57
; NumVGPRsForWavesPerEU: 18
; Occupancy: 16
; WaveLimiterHint : 1
; COMPUTE_PGM_RSRC2:SCRATCH_EN: 0
; COMPUTE_PGM_RSRC2:USER_SGPR: 13
; COMPUTE_PGM_RSRC2:TRAP_HANDLER: 0
; COMPUTE_PGM_RSRC2:TGID_X_EN: 1
; COMPUTE_PGM_RSRC2:TGID_Y_EN: 1
; COMPUTE_PGM_RSRC2:TGID_Z_EN: 1
; COMPUTE_PGM_RSRC2:TIDIG_COMP_CNT: 0
	.section	.text._ZL10k_get_rowsILi32ELi2EXadL_ZL15dequantize_q4_0PKvliR15HIP_vector_typeIfLj2EEEE14__hip_bfloat16EvS1_PKiPT2_llS2_IjLj3EEmmmmmmmmm,"axG",@progbits,_ZL10k_get_rowsILi32ELi2EXadL_ZL15dequantize_q4_0PKvliR15HIP_vector_typeIfLj2EEEE14__hip_bfloat16EvS1_PKiPT2_llS2_IjLj3EEmmmmmmmmm,comdat
	.globl	_ZL10k_get_rowsILi32ELi2EXadL_ZL15dequantize_q4_0PKvliR15HIP_vector_typeIfLj2EEEE14__hip_bfloat16EvS1_PKiPT2_llS2_IjLj3EEmmmmmmmmm ; -- Begin function _ZL10k_get_rowsILi32ELi2EXadL_ZL15dequantize_q4_0PKvliR15HIP_vector_typeIfLj2EEEE14__hip_bfloat16EvS1_PKiPT2_llS2_IjLj3EEmmmmmmmmm
	.p2align	8
	.type	_ZL10k_get_rowsILi32ELi2EXadL_ZL15dequantize_q4_0PKvliR15HIP_vector_typeIfLj2EEEE14__hip_bfloat16EvS1_PKiPT2_llS2_IjLj3EEmmmmmmmmm,@function
_ZL10k_get_rowsILi32ELi2EXadL_ZL15dequantize_q4_0PKvliR15HIP_vector_typeIfLj2EEEE14__hip_bfloat16EvS1_PKiPT2_llS2_IjLj3EEmmmmmmmmm: ; @_ZL10k_get_rowsILi32ELi2EXadL_ZL15dequantize_q4_0PKvliR15HIP_vector_typeIfLj2EEEE14__hip_bfloat16EvS1_PKiPT2_llS2_IjLj3EEmmmmmmmmm
; %bb.0:
	s_clause 0x1
	s_load_b128 s[4:7], s[0:1], 0x18
	s_load_b64 s[34:35], s[0:1], 0x2c
	s_mov_b32 s2, s15
	s_mov_b32 s3, 0
	s_waitcnt lgkmcnt(0)
	s_mul_i32 s7, s35, s7
	s_mul_hi_u32 s8, s35, s6
	s_mul_i32 s6, s35, s6
	s_add_i32 s7, s8, s7
	s_delay_alu instid0(SALU_CYCLE_1) | instskip(NEXT) | instid1(VALU_DEP_1)
	v_cmp_le_i64_e64 s8, s[6:7], s[2:3]
	s_and_b32 vcc_lo, exec_lo, s8
	s_cbranch_vccnz .LBB35_14
; %bb.1:
	s_clause 0x5
	s_load_b64 s[36:37], s[0:1], 0x88
	s_load_b512 s[16:31], s[0:1], 0x38
	s_load_b64 s[38:39], s[0:1], 0x78
	s_load_b128 s[8:11], s[0:1], 0x0
	s_load_b64 s[42:43], s[0:1], 0x10
	s_load_b32 s33, s[0:1], 0x28
	s_add_u32 s40, s0, 0x80
	s_addc_u32 s41, s1, 0
	s_ashr_i32 s1, s13, 31
	v_mov_b32_e32 v1, 0
	s_waitcnt lgkmcnt(0)
	s_and_b32 s37, s37, 0xffff
	s_mul_i32 s12, s13, s29
	s_mul_hi_u32 s15, s13, s28
	s_mul_i32 s29, s1, s28
	s_mul_i32 s45, s1, s16
	s_add_i32 s1, s15, s12
	s_mul_i32 s0, s13, s28
	s_add_i32 s1, s1, s29
	s_mul_i32 s14, s14, s37
	s_lshl_b64 s[0:1], s[0:1], 2
	s_mul_i32 s28, s13, s17
	s_mul_hi_u32 s44, s13, s16
	v_add_lshl_u32 v0, s14, v0, 1
	s_mul_i32 s12, s13, s16
	s_add_u32 s16, s10, s0
	s_addc_u32 s17, s11, s1
	s_add_i32 s1, s44, s28
	v_cmp_gt_i64_e64 s0, s[4:5], v[0:1]
	s_add_i32 s13, s1, s45
	v_lshlrev_b64 v[2:3], 27, v[0:1]
	s_lshl_b64 s[10:11], s[12:13], 1
	s_delay_alu instid0(SALU_CYCLE_1)
	s_add_u32 s28, s42, s10
	s_addc_u32 s29, s43, s11
	s_mov_b64 s[10:11], s[2:3]
	s_branch .LBB35_3
.LBB35_2:                               ;   in Loop: Header=BB35_3 Depth=1
	s_or_b32 exec_lo, exec_lo, s42
	s_add_u32 s10, s10, s36
	s_addc_u32 s11, s11, 0
	s_delay_alu instid0(SALU_CYCLE_1) | instskip(NEXT) | instid1(VALU_DEP_1)
	v_cmp_ge_i64_e64 s1, s[10:11], s[6:7]
	s_and_b32 vcc_lo, exec_lo, s1
	s_cbranch_vccnz .LBB35_14
.LBB35_3:                               ; =>This Loop Header: Depth=1
                                        ;     Child Loop BB35_6 Depth 2
	s_and_saveexec_b32 s42, s0
	s_cbranch_execz .LBB35_2
; %bb.4:                                ;   in Loop: Header=BB35_3 Depth=1
	s_mul_hi_u32 s1, s10, s33
	v_dual_mov_b32 v5, v3 :: v_dual_mov_b32 v4, v2
	s_add_i32 s1, s1, s10
	v_dual_mov_b32 v7, v1 :: v_dual_mov_b32 v6, v0
	s_lshr_b32 s1, s1, s34
	s_delay_alu instid0(SALU_CYCLE_1)
	s_mul_i32 s2, s1, s35
	s_mul_i32 s12, s1, s31
	s_mul_hi_u32 s13, s1, s30
	s_ashr_i32 s45, s1, 31
	s_add_i32 s12, s13, s12
	s_mul_i32 s13, s45, s30
	s_sub_i32 s2, s10, s2
	s_add_i32 s13, s12, s13
	s_mul_i32 s12, s2, s39
	s_mul_hi_u32 s14, s2, s38
	s_ashr_i32 s46, s2, 31
	s_add_i32 s14, s14, s12
	s_mul_i32 s12, s1, s30
	s_mul_i32 s15, s46, s38
	s_lshl_b64 s[12:13], s[12:13], 2
	s_add_i32 s15, s14, s15
	s_mul_i32 s14, s2, s38
	s_add_u32 s43, s16, s12
	s_addc_u32 s44, s17, s13
	s_lshl_b64 s[12:13], s[14:15], 2
	s_mul_hi_u32 s14, s1, s18
	s_add_u32 s12, s43, s12
	s_addc_u32 s13, s44, s13
	s_load_b32 s47, s[12:13], 0x0
	s_load_b32 s48, s[40:41], 0x4
	s_mul_i32 s13, s1, s19
	s_mul_i32 s15, s45, s18
	s_add_i32 s13, s14, s13
	s_mul_i32 s12, s1, s18
	s_add_i32 s13, s13, s15
	s_mul_i32 s43, s2, s21
	s_lshl_b64 s[12:13], s[12:13], 1
	s_mul_hi_u32 s44, s2, s20
	s_mul_i32 s15, s46, s20
	s_mul_i32 s14, s2, s20
	;; [unrolled: 1-line block ×5, first 2 shown]
	s_waitcnt lgkmcnt(0)
	s_ashr_i32 s50, s47, 31
	s_add_u32 s51, s28, s12
	s_addc_u32 s52, s29, s13
	s_add_i32 s12, s44, s43
	s_mul_i32 s53, s47, s23
	s_add_i32 s15, s12, s15
	s_mul_hi_u32 s54, s47, s22
	s_lshl_b64 s[12:13], s[14:15], 1
	s_mul_i32 s50, s50, s22
	s_add_u32 s43, s51, s12
	s_addc_u32 s44, s52, s13
	s_add_i32 s12, s54, s53
	s_mul_i32 s47, s47, s22
	s_add_i32 s12, s12, s50
	s_mul_hi_u32 s14, s1, s24
	s_add_u32 s13, s8, s47
	s_addc_u32 s12, s9, s12
	s_add_i32 s14, s14, s49
	s_mul_i32 s1, s1, s24
	s_add_i32 s14, s14, s45
	s_add_u32 s1, s13, s1
	s_mul_i32 s13, s2, s27
	s_mul_hi_u32 s15, s2, s26
	s_addc_u32 s14, s12, s14
	s_add_i32 s12, s15, s13
	s_mul_i32 s2, s2, s26
	s_add_i32 s13, s12, s46
	s_add_u32 s12, s1, s2
	s_mul_i32 s2, s48, s37
	s_addc_u32 s13, s14, s13
	s_lshl_b64 s[14:15], s[2:3], 27
	s_mov_b32 s45, 0
	s_branch .LBB35_6
.LBB35_5:                               ;   in Loop: Header=BB35_6 Depth=2
	s_or_b32 exec_lo, exec_lo, s1
	v_add_co_u32 v6, vcc_lo, v6, s2
	v_add_co_ci_u32_e32 v7, vcc_lo, 0, v7, vcc_lo
	v_add_co_u32 v4, s1, v4, s14
	s_delay_alu instid0(VALU_DEP_1) | instskip(NEXT) | instid1(VALU_DEP_3)
	v_add_co_ci_u32_e64 v5, s1, s15, v5, s1
	v_cmp_le_i64_e32 vcc_lo, s[4:5], v[6:7]
	global_store_d16_hi_b16 v[8:9], v10, off offset:32
	s_or_b32 s45, vcc_lo, s45
	s_delay_alu instid0(SALU_CYCLE_1)
	s_and_not1_b32 exec_lo, exec_lo, s45
	s_cbranch_execz .LBB35_2
.LBB35_6:                               ;   Parent Loop BB35_3 Depth=1
                                        ; =>  This Inner Loop Header: Depth=2
	v_mad_i64_i32 v[9:10], null, v5, 18, s[12:13]
	v_bfe_u32 v8, v6, 1, 4
	s_delay_alu instid0(VALU_DEP_1) | instskip(NEXT) | instid1(VALU_DEP_3)
	v_add_co_u32 v11, vcc_lo, v9, v8
	v_add_co_ci_u32_e32 v12, vcc_lo, 0, v10, vcc_lo
	s_clause 0x1
	global_load_u8 v11, v[11:12], off offset:2
	global_load_u16 v9, v[9:10], off
	s_waitcnt vmcnt(1)
	v_and_b32_e32 v10, 15, v11
	s_waitcnt vmcnt(0)
	v_cvt_f32_f16_e32 v9, v9
	s_delay_alu instid0(VALU_DEP_2) | instskip(NEXT) | instid1(VALU_DEP_1)
	v_add_nc_u32_e32 v10, -8, v10
	v_cvt_f32_i32_e32 v10, v10
	s_delay_alu instid0(VALU_DEP_1) | instskip(NEXT) | instid1(VALU_DEP_1)
	v_mul_f32_e32 v12, v9, v10
	v_and_b32_e32 v10, 0x7f800000, v12
	s_delay_alu instid0(VALU_DEP_1) | instskip(SKIP_1) | instid1(SALU_CYCLE_1)
	v_cmp_ne_u32_e32 vcc_lo, 0x7f800000, v10
                                        ; implicit-def: $vgpr10
	s_and_saveexec_b32 s1, vcc_lo
	s_xor_b32 s1, exec_lo, s1
; %bb.7:                                ;   in Loop: Header=BB35_6 Depth=2
	v_bfe_u32 v10, v12, 16, 1
	s_delay_alu instid0(VALU_DEP_1)
	v_add3_u32 v10, v12, v10, 0x7fff
                                        ; implicit-def: $vgpr12
; %bb.8:                                ;   in Loop: Header=BB35_6 Depth=2
	s_and_not1_saveexec_b32 s1, s1
; %bb.9:                                ;   in Loop: Header=BB35_6 Depth=2
	v_and_b32_e32 v10, 0xffff, v12
	v_or_b32_e32 v13, 0x10000, v12
	s_delay_alu instid0(VALU_DEP_2) | instskip(NEXT) | instid1(VALU_DEP_2)
	v_cmp_eq_u32_e32 vcc_lo, 0, v10
	v_cndmask_b32_e32 v10, v13, v12, vcc_lo
; %bb.10:                               ;   in Loop: Header=BB35_6 Depth=2
	s_or_b32 exec_lo, exec_lo, s1
	v_lshrrev_b32_e32 v11, 4, v11
	v_and_or_b32 v12, 0xffffffe0, v6, v8
	s_mov_b32 s1, exec_lo
	s_delay_alu instid0(VALU_DEP_2) | instskip(NEXT) | instid1(VALU_DEP_2)
	v_add_nc_u32_e32 v11, -8, v11
	v_ashrrev_i32_e32 v13, 31, v12
	s_delay_alu instid0(VALU_DEP_2) | instskip(NEXT) | instid1(VALU_DEP_1)
	v_cvt_f32_i32_e32 v8, v11
	v_mul_f32_e32 v11, v9, v8
	s_delay_alu instid0(VALU_DEP_3) | instskip(NEXT) | instid1(VALU_DEP_2)
	v_lshlrev_b64 v[8:9], 1, v[12:13]
	v_and_b32_e32 v12, 0x7f800000, v11
	s_delay_alu instid0(VALU_DEP_2) | instskip(NEXT) | instid1(VALU_DEP_3)
	v_add_co_u32 v8, vcc_lo, s43, v8
	v_add_co_ci_u32_e32 v9, vcc_lo, s44, v9, vcc_lo
	global_store_d16_hi_b16 v[8:9], v10, off
                                        ; implicit-def: $vgpr10
	v_cmpx_ne_u32_e32 0x7f800000, v12
	s_xor_b32 s1, exec_lo, s1
; %bb.11:                               ;   in Loop: Header=BB35_6 Depth=2
	v_bfe_u32 v10, v11, 16, 1
	s_delay_alu instid0(VALU_DEP_1)
	v_add3_u32 v10, v11, v10, 0x7fff
                                        ; implicit-def: $vgpr11
; %bb.12:                               ;   in Loop: Header=BB35_6 Depth=2
	s_and_not1_saveexec_b32 s1, s1
	s_cbranch_execz .LBB35_5
; %bb.13:                               ;   in Loop: Header=BB35_6 Depth=2
	v_and_b32_e32 v10, 0xffff, v11
	v_or_b32_e32 v12, 0x10000, v11
	s_delay_alu instid0(VALU_DEP_2) | instskip(NEXT) | instid1(VALU_DEP_2)
	v_cmp_eq_u32_e32 vcc_lo, 0, v10
	v_cndmask_b32_e32 v10, v12, v11, vcc_lo
	s_branch .LBB35_5
.LBB35_14:
	s_nop 0
	s_sendmsg sendmsg(MSG_DEALLOC_VGPRS)
	s_endpgm
	.section	.rodata,"a",@progbits
	.p2align	6, 0x0
	.amdhsa_kernel _ZL10k_get_rowsILi32ELi2EXadL_ZL15dequantize_q4_0PKvliR15HIP_vector_typeIfLj2EEEE14__hip_bfloat16EvS1_PKiPT2_llS2_IjLj3EEmmmmmmmmm
		.amdhsa_group_segment_fixed_size 0
		.amdhsa_private_segment_fixed_size 0
		.amdhsa_kernarg_size 384
		.amdhsa_user_sgpr_count 13
		.amdhsa_user_sgpr_dispatch_ptr 0
		.amdhsa_user_sgpr_queue_ptr 0
		.amdhsa_user_sgpr_kernarg_segment_ptr 1
		.amdhsa_user_sgpr_dispatch_id 0
		.amdhsa_user_sgpr_private_segment_size 0
		.amdhsa_wavefront_size32 1
		.amdhsa_uses_dynamic_stack 0
		.amdhsa_enable_private_segment 0
		.amdhsa_system_sgpr_workgroup_id_x 1
		.amdhsa_system_sgpr_workgroup_id_y 1
		.amdhsa_system_sgpr_workgroup_id_z 1
		.amdhsa_system_sgpr_workgroup_info 0
		.amdhsa_system_vgpr_workitem_id 0
		.amdhsa_next_free_vgpr 14
		.amdhsa_next_free_sgpr 55
		.amdhsa_reserve_vcc 1
		.amdhsa_float_round_mode_32 0
		.amdhsa_float_round_mode_16_64 0
		.amdhsa_float_denorm_mode_32 3
		.amdhsa_float_denorm_mode_16_64 3
		.amdhsa_dx10_clamp 1
		.amdhsa_ieee_mode 1
		.amdhsa_fp16_overflow 0
		.amdhsa_workgroup_processor_mode 1
		.amdhsa_memory_ordered 1
		.amdhsa_forward_progress 0
		.amdhsa_shared_vgpr_count 0
		.amdhsa_exception_fp_ieee_invalid_op 0
		.amdhsa_exception_fp_denorm_src 0
		.amdhsa_exception_fp_ieee_div_zero 0
		.amdhsa_exception_fp_ieee_overflow 0
		.amdhsa_exception_fp_ieee_underflow 0
		.amdhsa_exception_fp_ieee_inexact 0
		.amdhsa_exception_int_div_zero 0
	.end_amdhsa_kernel
	.section	.text._ZL10k_get_rowsILi32ELi2EXadL_ZL15dequantize_q4_0PKvliR15HIP_vector_typeIfLj2EEEE14__hip_bfloat16EvS1_PKiPT2_llS2_IjLj3EEmmmmmmmmm,"axG",@progbits,_ZL10k_get_rowsILi32ELi2EXadL_ZL15dequantize_q4_0PKvliR15HIP_vector_typeIfLj2EEEE14__hip_bfloat16EvS1_PKiPT2_llS2_IjLj3EEmmmmmmmmm,comdat
.Lfunc_end35:
	.size	_ZL10k_get_rowsILi32ELi2EXadL_ZL15dequantize_q4_0PKvliR15HIP_vector_typeIfLj2EEEE14__hip_bfloat16EvS1_PKiPT2_llS2_IjLj3EEmmmmmmmmm, .Lfunc_end35-_ZL10k_get_rowsILi32ELi2EXadL_ZL15dequantize_q4_0PKvliR15HIP_vector_typeIfLj2EEEE14__hip_bfloat16EvS1_PKiPT2_llS2_IjLj3EEmmmmmmmmm
                                        ; -- End function
	.section	.AMDGPU.csdata,"",@progbits
; Kernel info:
; codeLenInByte = 1048
; NumSgprs: 57
; NumVgprs: 14
; ScratchSize: 0
; MemoryBound: 0
; FloatMode: 240
; IeeeMode: 1
; LDSByteSize: 0 bytes/workgroup (compile time only)
; SGPRBlocks: 7
; VGPRBlocks: 1
; NumSGPRsForWavesPerEU: 57
; NumVGPRsForWavesPerEU: 14
; Occupancy: 16
; WaveLimiterHint : 1
; COMPUTE_PGM_RSRC2:SCRATCH_EN: 0
; COMPUTE_PGM_RSRC2:USER_SGPR: 13
; COMPUTE_PGM_RSRC2:TRAP_HANDLER: 0
; COMPUTE_PGM_RSRC2:TGID_X_EN: 1
; COMPUTE_PGM_RSRC2:TGID_Y_EN: 1
; COMPUTE_PGM_RSRC2:TGID_Z_EN: 1
; COMPUTE_PGM_RSRC2:TIDIG_COMP_CNT: 0
	.section	.text._ZL10k_get_rowsILi32ELi2EXadL_ZL15dequantize_q4_1PKvliR15HIP_vector_typeIfLj2EEEE14__hip_bfloat16EvS1_PKiPT2_llS2_IjLj3EEmmmmmmmmm,"axG",@progbits,_ZL10k_get_rowsILi32ELi2EXadL_ZL15dequantize_q4_1PKvliR15HIP_vector_typeIfLj2EEEE14__hip_bfloat16EvS1_PKiPT2_llS2_IjLj3EEmmmmmmmmm,comdat
	.globl	_ZL10k_get_rowsILi32ELi2EXadL_ZL15dequantize_q4_1PKvliR15HIP_vector_typeIfLj2EEEE14__hip_bfloat16EvS1_PKiPT2_llS2_IjLj3EEmmmmmmmmm ; -- Begin function _ZL10k_get_rowsILi32ELi2EXadL_ZL15dequantize_q4_1PKvliR15HIP_vector_typeIfLj2EEEE14__hip_bfloat16EvS1_PKiPT2_llS2_IjLj3EEmmmmmmmmm
	.p2align	8
	.type	_ZL10k_get_rowsILi32ELi2EXadL_ZL15dequantize_q4_1PKvliR15HIP_vector_typeIfLj2EEEE14__hip_bfloat16EvS1_PKiPT2_llS2_IjLj3EEmmmmmmmmm,@function
_ZL10k_get_rowsILi32ELi2EXadL_ZL15dequantize_q4_1PKvliR15HIP_vector_typeIfLj2EEEE14__hip_bfloat16EvS1_PKiPT2_llS2_IjLj3EEmmmmmmmmm: ; @_ZL10k_get_rowsILi32ELi2EXadL_ZL15dequantize_q4_1PKvliR15HIP_vector_typeIfLj2EEEE14__hip_bfloat16EvS1_PKiPT2_llS2_IjLj3EEmmmmmmmmm
; %bb.0:
	s_clause 0x1
	s_load_b128 s[4:7], s[0:1], 0x18
	s_load_b64 s[34:35], s[0:1], 0x2c
	s_mov_b32 s2, s15
	s_mov_b32 s3, 0
	s_waitcnt lgkmcnt(0)
	s_mul_i32 s7, s35, s7
	s_mul_hi_u32 s8, s35, s6
	s_mul_i32 s6, s35, s6
	s_add_i32 s7, s8, s7
	s_delay_alu instid0(SALU_CYCLE_1) | instskip(NEXT) | instid1(VALU_DEP_1)
	v_cmp_le_i64_e64 s8, s[6:7], s[2:3]
	s_and_b32 vcc_lo, exec_lo, s8
	s_cbranch_vccnz .LBB36_14
; %bb.1:
	s_clause 0x5
	s_load_b64 s[36:37], s[0:1], 0x88
	s_load_b512 s[16:31], s[0:1], 0x38
	s_load_b64 s[38:39], s[0:1], 0x78
	s_load_b128 s[8:11], s[0:1], 0x0
	s_load_b64 s[42:43], s[0:1], 0x10
	s_load_b32 s33, s[0:1], 0x28
	s_add_u32 s40, s0, 0x80
	s_addc_u32 s41, s1, 0
	s_ashr_i32 s1, s13, 31
	v_mov_b32_e32 v1, 0
	s_waitcnt lgkmcnt(0)
	s_and_b32 s37, s37, 0xffff
	s_mul_i32 s12, s13, s29
	s_mul_hi_u32 s15, s13, s28
	s_mul_i32 s29, s1, s28
	s_mul_i32 s45, s1, s16
	s_add_i32 s1, s15, s12
	s_mul_i32 s0, s13, s28
	s_add_i32 s1, s1, s29
	s_mul_i32 s14, s14, s37
	s_lshl_b64 s[0:1], s[0:1], 2
	s_mul_i32 s28, s13, s17
	s_mul_hi_u32 s44, s13, s16
	v_add_lshl_u32 v0, s14, v0, 1
	s_mul_i32 s12, s13, s16
	s_add_u32 s16, s10, s0
	s_addc_u32 s17, s11, s1
	s_add_i32 s1, s44, s28
	v_cmp_gt_i64_e64 s0, s[4:5], v[0:1]
	s_add_i32 s13, s1, s45
	v_lshlrev_b64 v[2:3], 27, v[0:1]
	s_lshl_b64 s[10:11], s[12:13], 1
	s_delay_alu instid0(SALU_CYCLE_1)
	s_add_u32 s28, s42, s10
	s_addc_u32 s29, s43, s11
	s_mov_b64 s[10:11], s[2:3]
	s_branch .LBB36_3
.LBB36_2:                               ;   in Loop: Header=BB36_3 Depth=1
	s_or_b32 exec_lo, exec_lo, s42
	s_add_u32 s10, s10, s36
	s_addc_u32 s11, s11, 0
	s_delay_alu instid0(SALU_CYCLE_1) | instskip(NEXT) | instid1(VALU_DEP_1)
	v_cmp_ge_i64_e64 s1, s[10:11], s[6:7]
	s_and_b32 vcc_lo, exec_lo, s1
	s_cbranch_vccnz .LBB36_14
.LBB36_3:                               ; =>This Loop Header: Depth=1
                                        ;     Child Loop BB36_6 Depth 2
	s_and_saveexec_b32 s42, s0
	s_cbranch_execz .LBB36_2
; %bb.4:                                ;   in Loop: Header=BB36_3 Depth=1
	s_mul_hi_u32 s1, s10, s33
	v_dual_mov_b32 v5, v3 :: v_dual_mov_b32 v4, v2
	s_add_i32 s1, s1, s10
	v_dual_mov_b32 v7, v1 :: v_dual_mov_b32 v6, v0
	s_lshr_b32 s1, s1, s34
	s_delay_alu instid0(SALU_CYCLE_1)
	s_mul_i32 s2, s1, s35
	s_mul_i32 s12, s1, s31
	s_mul_hi_u32 s13, s1, s30
	s_ashr_i32 s45, s1, 31
	s_add_i32 s12, s13, s12
	s_mul_i32 s13, s45, s30
	s_sub_i32 s2, s10, s2
	s_add_i32 s13, s12, s13
	s_mul_i32 s12, s2, s39
	s_mul_hi_u32 s14, s2, s38
	s_ashr_i32 s46, s2, 31
	s_add_i32 s14, s14, s12
	s_mul_i32 s12, s1, s30
	s_mul_i32 s15, s46, s38
	s_lshl_b64 s[12:13], s[12:13], 2
	s_add_i32 s15, s14, s15
	s_mul_i32 s14, s2, s38
	s_add_u32 s43, s16, s12
	s_addc_u32 s44, s17, s13
	s_lshl_b64 s[12:13], s[14:15], 2
	s_mul_hi_u32 s14, s1, s18
	s_add_u32 s12, s43, s12
	s_addc_u32 s13, s44, s13
	s_load_b32 s47, s[12:13], 0x0
	s_load_b32 s48, s[40:41], 0x4
	s_mul_i32 s13, s1, s19
	s_mul_i32 s15, s45, s18
	s_add_i32 s13, s14, s13
	s_mul_i32 s12, s1, s18
	s_add_i32 s13, s13, s15
	s_mul_i32 s43, s2, s21
	s_lshl_b64 s[12:13], s[12:13], 1
	s_mul_hi_u32 s44, s2, s20
	s_mul_i32 s15, s46, s20
	s_mul_i32 s14, s2, s20
	;; [unrolled: 1-line block ×5, first 2 shown]
	s_waitcnt lgkmcnt(0)
	s_ashr_i32 s50, s47, 31
	s_add_u32 s51, s28, s12
	s_addc_u32 s52, s29, s13
	s_add_i32 s12, s44, s43
	s_mul_i32 s53, s47, s23
	s_add_i32 s15, s12, s15
	s_mul_hi_u32 s54, s47, s22
	s_lshl_b64 s[12:13], s[14:15], 1
	s_mul_i32 s50, s50, s22
	s_add_u32 s43, s51, s12
	s_addc_u32 s44, s52, s13
	s_add_i32 s12, s54, s53
	s_mul_i32 s47, s47, s22
	s_add_i32 s12, s12, s50
	s_mul_hi_u32 s14, s1, s24
	s_add_u32 s13, s8, s47
	s_addc_u32 s12, s9, s12
	s_add_i32 s14, s14, s49
	s_mul_i32 s1, s1, s24
	s_add_i32 s14, s14, s45
	s_add_u32 s1, s13, s1
	s_mul_i32 s13, s2, s27
	s_mul_hi_u32 s15, s2, s26
	s_addc_u32 s14, s12, s14
	s_add_i32 s12, s15, s13
	s_mul_i32 s2, s2, s26
	s_add_i32 s13, s12, s46
	s_add_u32 s12, s1, s2
	s_mul_i32 s2, s48, s37
	s_addc_u32 s13, s14, s13
	s_lshl_b64 s[14:15], s[2:3], 27
	s_mov_b32 s45, 0
	s_branch .LBB36_6
.LBB36_5:                               ;   in Loop: Header=BB36_6 Depth=2
	s_or_b32 exec_lo, exec_lo, s1
	v_add_co_u32 v6, vcc_lo, v6, s2
	v_add_co_ci_u32_e32 v7, vcc_lo, 0, v7, vcc_lo
	v_add_co_u32 v4, s1, v4, s14
	s_delay_alu instid0(VALU_DEP_1) | instskip(NEXT) | instid1(VALU_DEP_3)
	v_add_co_ci_u32_e64 v5, s1, s15, v5, s1
	v_cmp_le_i64_e32 vcc_lo, s[4:5], v[6:7]
	global_store_d16_hi_b16 v[8:9], v10, off offset:32
	s_or_b32 s45, vcc_lo, s45
	s_delay_alu instid0(SALU_CYCLE_1)
	s_and_not1_b32 exec_lo, exec_lo, s45
	s_cbranch_execz .LBB36_2
.LBB36_6:                               ;   Parent Loop BB36_3 Depth=1
                                        ; =>  This Inner Loop Header: Depth=2
	v_mad_i64_i32 v[9:10], null, v5, 20, s[12:13]
	v_bfe_u32 v8, v6, 1, 4
	s_delay_alu instid0(VALU_DEP_1) | instskip(NEXT) | instid1(VALU_DEP_3)
	v_add_co_u32 v11, vcc_lo, v9, v8
	v_add_co_ci_u32_e32 v12, vcc_lo, 0, v10, vcc_lo
	s_clause 0x1
	global_load_u8 v11, v[11:12], off offset:4
	global_load_b32 v9, v[9:10], off
	s_waitcnt vmcnt(1)
	v_and_b32_e32 v10, 15, v11
	s_delay_alu instid0(VALU_DEP_1) | instskip(SKIP_1) | instid1(VALU_DEP_1)
	v_cvt_f32_ubyte0_e32 v10, v10
	s_waitcnt vmcnt(0)
	v_fma_mix_f32 v12, v9, v10, v9 op_sel:[0,0,1] op_sel_hi:[1,0,1]
	s_delay_alu instid0(VALU_DEP_1) | instskip(NEXT) | instid1(VALU_DEP_1)
	v_and_b32_e32 v10, 0x7f800000, v12
	v_cmp_ne_u32_e32 vcc_lo, 0x7f800000, v10
                                        ; implicit-def: $vgpr10
	s_and_saveexec_b32 s1, vcc_lo
	s_delay_alu instid0(SALU_CYCLE_1)
	s_xor_b32 s1, exec_lo, s1
; %bb.7:                                ;   in Loop: Header=BB36_6 Depth=2
	v_bfe_u32 v10, v12, 16, 1
	s_delay_alu instid0(VALU_DEP_1)
	v_add3_u32 v10, v12, v10, 0x7fff
                                        ; implicit-def: $vgpr12
; %bb.8:                                ;   in Loop: Header=BB36_6 Depth=2
	s_and_not1_saveexec_b32 s1, s1
; %bb.9:                                ;   in Loop: Header=BB36_6 Depth=2
	v_and_b32_e32 v10, 0xffff, v12
	v_or_b32_e32 v13, 0x10000, v12
	s_delay_alu instid0(VALU_DEP_2) | instskip(NEXT) | instid1(VALU_DEP_2)
	v_cmp_eq_u32_e32 vcc_lo, 0, v10
	v_cndmask_b32_e32 v10, v13, v12, vcc_lo
; %bb.10:                               ;   in Loop: Header=BB36_6 Depth=2
	s_or_b32 exec_lo, exec_lo, s1
	v_and_or_b32 v8, 0xffffffe0, v6, v8
	v_lshrrev_b32_e32 v12, 16, v9
	v_lshrrev_b32_e32 v13, 4, v11
	v_cvt_f32_f16_e32 v14, v9
	s_mov_b32 s1, exec_lo
	v_ashrrev_i32_e32 v9, 31, v8
	v_cvt_f32_f16_e32 v11, v12
	v_cvt_f32_ubyte0_e32 v12, v13
	s_delay_alu instid0(VALU_DEP_3) | instskip(NEXT) | instid1(VALU_DEP_2)
	v_lshlrev_b64 v[8:9], 1, v[8:9]
	v_fmac_f32_e32 v11, v14, v12
	s_delay_alu instid0(VALU_DEP_2) | instskip(NEXT) | instid1(VALU_DEP_2)
	v_add_co_u32 v8, vcc_lo, s43, v8
	v_and_b32_e32 v12, 0x7f800000, v11
	s_delay_alu instid0(VALU_DEP_4)
	v_add_co_ci_u32_e32 v9, vcc_lo, s44, v9, vcc_lo
	global_store_d16_hi_b16 v[8:9], v10, off
                                        ; implicit-def: $vgpr10
	v_cmpx_ne_u32_e32 0x7f800000, v12
	s_xor_b32 s1, exec_lo, s1
; %bb.11:                               ;   in Loop: Header=BB36_6 Depth=2
	v_bfe_u32 v10, v11, 16, 1
	s_delay_alu instid0(VALU_DEP_1)
	v_add3_u32 v10, v11, v10, 0x7fff
                                        ; implicit-def: $vgpr11
; %bb.12:                               ;   in Loop: Header=BB36_6 Depth=2
	s_and_not1_saveexec_b32 s1, s1
	s_cbranch_execz .LBB36_5
; %bb.13:                               ;   in Loop: Header=BB36_6 Depth=2
	v_and_b32_e32 v10, 0xffff, v11
	v_or_b32_e32 v12, 0x10000, v11
	s_delay_alu instid0(VALU_DEP_2) | instskip(NEXT) | instid1(VALU_DEP_2)
	v_cmp_eq_u32_e32 vcc_lo, 0, v10
	v_cndmask_b32_e32 v10, v12, v11, vcc_lo
	s_branch .LBB36_5
.LBB36_14:
	s_nop 0
	s_sendmsg sendmsg(MSG_DEALLOC_VGPRS)
	s_endpgm
	.section	.rodata,"a",@progbits
	.p2align	6, 0x0
	.amdhsa_kernel _ZL10k_get_rowsILi32ELi2EXadL_ZL15dequantize_q4_1PKvliR15HIP_vector_typeIfLj2EEEE14__hip_bfloat16EvS1_PKiPT2_llS2_IjLj3EEmmmmmmmmm
		.amdhsa_group_segment_fixed_size 0
		.amdhsa_private_segment_fixed_size 0
		.amdhsa_kernarg_size 384
		.amdhsa_user_sgpr_count 13
		.amdhsa_user_sgpr_dispatch_ptr 0
		.amdhsa_user_sgpr_queue_ptr 0
		.amdhsa_user_sgpr_kernarg_segment_ptr 1
		.amdhsa_user_sgpr_dispatch_id 0
		.amdhsa_user_sgpr_private_segment_size 0
		.amdhsa_wavefront_size32 1
		.amdhsa_uses_dynamic_stack 0
		.amdhsa_enable_private_segment 0
		.amdhsa_system_sgpr_workgroup_id_x 1
		.amdhsa_system_sgpr_workgroup_id_y 1
		.amdhsa_system_sgpr_workgroup_id_z 1
		.amdhsa_system_sgpr_workgroup_info 0
		.amdhsa_system_vgpr_workitem_id 0
		.amdhsa_next_free_vgpr 15
		.amdhsa_next_free_sgpr 55
		.amdhsa_reserve_vcc 1
		.amdhsa_float_round_mode_32 0
		.amdhsa_float_round_mode_16_64 0
		.amdhsa_float_denorm_mode_32 3
		.amdhsa_float_denorm_mode_16_64 3
		.amdhsa_dx10_clamp 1
		.amdhsa_ieee_mode 1
		.amdhsa_fp16_overflow 0
		.amdhsa_workgroup_processor_mode 1
		.amdhsa_memory_ordered 1
		.amdhsa_forward_progress 0
		.amdhsa_shared_vgpr_count 0
		.amdhsa_exception_fp_ieee_invalid_op 0
		.amdhsa_exception_fp_denorm_src 0
		.amdhsa_exception_fp_ieee_div_zero 0
		.amdhsa_exception_fp_ieee_overflow 0
		.amdhsa_exception_fp_ieee_underflow 0
		.amdhsa_exception_fp_ieee_inexact 0
		.amdhsa_exception_int_div_zero 0
	.end_amdhsa_kernel
	.section	.text._ZL10k_get_rowsILi32ELi2EXadL_ZL15dequantize_q4_1PKvliR15HIP_vector_typeIfLj2EEEE14__hip_bfloat16EvS1_PKiPT2_llS2_IjLj3EEmmmmmmmmm,"axG",@progbits,_ZL10k_get_rowsILi32ELi2EXadL_ZL15dequantize_q4_1PKvliR15HIP_vector_typeIfLj2EEEE14__hip_bfloat16EvS1_PKiPT2_llS2_IjLj3EEmmmmmmmmm,comdat
.Lfunc_end36:
	.size	_ZL10k_get_rowsILi32ELi2EXadL_ZL15dequantize_q4_1PKvliR15HIP_vector_typeIfLj2EEEE14__hip_bfloat16EvS1_PKiPT2_llS2_IjLj3EEmmmmmmmmm, .Lfunc_end36-_ZL10k_get_rowsILi32ELi2EXadL_ZL15dequantize_q4_1PKvliR15HIP_vector_typeIfLj2EEEE14__hip_bfloat16EvS1_PKiPT2_llS2_IjLj3EEmmmmmmmmm
                                        ; -- End function
	.section	.AMDGPU.csdata,"",@progbits
; Kernel info:
; codeLenInByte = 1048
; NumSgprs: 57
; NumVgprs: 15
; ScratchSize: 0
; MemoryBound: 0
; FloatMode: 240
; IeeeMode: 1
; LDSByteSize: 0 bytes/workgroup (compile time only)
; SGPRBlocks: 7
; VGPRBlocks: 1
; NumSGPRsForWavesPerEU: 57
; NumVGPRsForWavesPerEU: 15
; Occupancy: 16
; WaveLimiterHint : 1
; COMPUTE_PGM_RSRC2:SCRATCH_EN: 0
; COMPUTE_PGM_RSRC2:USER_SGPR: 13
; COMPUTE_PGM_RSRC2:TRAP_HANDLER: 0
; COMPUTE_PGM_RSRC2:TGID_X_EN: 1
; COMPUTE_PGM_RSRC2:TGID_Y_EN: 1
; COMPUTE_PGM_RSRC2:TGID_Z_EN: 1
; COMPUTE_PGM_RSRC2:TIDIG_COMP_CNT: 0
	.section	.text._ZL10k_get_rowsILi32ELi2EXadL_ZL15dequantize_q5_0PKvliR15HIP_vector_typeIfLj2EEEE14__hip_bfloat16EvS1_PKiPT2_llS2_IjLj3EEmmmmmmmmm,"axG",@progbits,_ZL10k_get_rowsILi32ELi2EXadL_ZL15dequantize_q5_0PKvliR15HIP_vector_typeIfLj2EEEE14__hip_bfloat16EvS1_PKiPT2_llS2_IjLj3EEmmmmmmmmm,comdat
	.globl	_ZL10k_get_rowsILi32ELi2EXadL_ZL15dequantize_q5_0PKvliR15HIP_vector_typeIfLj2EEEE14__hip_bfloat16EvS1_PKiPT2_llS2_IjLj3EEmmmmmmmmm ; -- Begin function _ZL10k_get_rowsILi32ELi2EXadL_ZL15dequantize_q5_0PKvliR15HIP_vector_typeIfLj2EEEE14__hip_bfloat16EvS1_PKiPT2_llS2_IjLj3EEmmmmmmmmm
	.p2align	8
	.type	_ZL10k_get_rowsILi32ELi2EXadL_ZL15dequantize_q5_0PKvliR15HIP_vector_typeIfLj2EEEE14__hip_bfloat16EvS1_PKiPT2_llS2_IjLj3EEmmmmmmmmm,@function
_ZL10k_get_rowsILi32ELi2EXadL_ZL15dequantize_q5_0PKvliR15HIP_vector_typeIfLj2EEEE14__hip_bfloat16EvS1_PKiPT2_llS2_IjLj3EEmmmmmmmmm: ; @_ZL10k_get_rowsILi32ELi2EXadL_ZL15dequantize_q5_0PKvliR15HIP_vector_typeIfLj2EEEE14__hip_bfloat16EvS1_PKiPT2_llS2_IjLj3EEmmmmmmmmm
; %bb.0:
	s_clause 0x1
	s_load_b128 s[4:7], s[0:1], 0x18
	s_load_b64 s[34:35], s[0:1], 0x2c
	s_mov_b32 s2, s15
	s_mov_b32 s3, 0
	s_waitcnt lgkmcnt(0)
	s_mul_i32 s7, s35, s7
	s_mul_hi_u32 s8, s35, s6
	s_mul_i32 s6, s35, s6
	s_add_i32 s7, s8, s7
	s_delay_alu instid0(SALU_CYCLE_1) | instskip(NEXT) | instid1(VALU_DEP_1)
	v_cmp_le_i64_e64 s8, s[6:7], s[2:3]
	s_and_b32 vcc_lo, exec_lo, s8
	s_cbranch_vccnz .LBB37_14
; %bb.1:
	s_clause 0x5
	s_load_b64 s[36:37], s[0:1], 0x88
	s_load_b512 s[16:31], s[0:1], 0x38
	s_load_b64 s[38:39], s[0:1], 0x78
	s_load_b128 s[8:11], s[0:1], 0x0
	s_load_b64 s[42:43], s[0:1], 0x10
	s_load_b32 s33, s[0:1], 0x28
	s_add_u32 s40, s0, 0x80
	s_addc_u32 s41, s1, 0
	s_ashr_i32 s1, s13, 31
	v_mov_b32_e32 v1, 0
	s_waitcnt lgkmcnt(0)
	s_and_b32 s37, s37, 0xffff
	s_mul_i32 s12, s13, s29
	s_mul_hi_u32 s15, s13, s28
	s_mul_i32 s29, s1, s28
	s_mul_i32 s45, s1, s16
	s_add_i32 s1, s15, s12
	s_mul_i32 s0, s13, s28
	s_add_i32 s1, s1, s29
	s_mul_i32 s14, s14, s37
	s_lshl_b64 s[0:1], s[0:1], 2
	s_mul_i32 s28, s13, s17
	s_mul_hi_u32 s44, s13, s16
	v_add_lshl_u32 v0, s14, v0, 1
	s_mul_i32 s12, s13, s16
	s_add_u32 s16, s10, s0
	s_addc_u32 s17, s11, s1
	s_add_i32 s1, s44, s28
	v_cmp_gt_i64_e64 s0, s[4:5], v[0:1]
	s_add_i32 s13, s1, s45
	v_lshlrev_b64 v[2:3], 27, v[0:1]
	s_lshl_b64 s[10:11], s[12:13], 1
	s_delay_alu instid0(SALU_CYCLE_1)
	s_add_u32 s28, s42, s10
	s_addc_u32 s29, s43, s11
	s_mov_b64 s[10:11], s[2:3]
	s_branch .LBB37_3
.LBB37_2:                               ;   in Loop: Header=BB37_3 Depth=1
	s_or_b32 exec_lo, exec_lo, s42
	s_add_u32 s10, s10, s36
	s_addc_u32 s11, s11, 0
	s_delay_alu instid0(SALU_CYCLE_1) | instskip(NEXT) | instid1(VALU_DEP_1)
	v_cmp_ge_i64_e64 s1, s[10:11], s[6:7]
	s_and_b32 vcc_lo, exec_lo, s1
	s_cbranch_vccnz .LBB37_14
.LBB37_3:                               ; =>This Loop Header: Depth=1
                                        ;     Child Loop BB37_6 Depth 2
	s_and_saveexec_b32 s42, s0
	s_cbranch_execz .LBB37_2
; %bb.4:                                ;   in Loop: Header=BB37_3 Depth=1
	s_mul_hi_u32 s1, s10, s33
	v_dual_mov_b32 v5, v3 :: v_dual_mov_b32 v4, v2
	s_add_i32 s1, s1, s10
	v_dual_mov_b32 v7, v1 :: v_dual_mov_b32 v6, v0
	s_lshr_b32 s1, s1, s34
	s_delay_alu instid0(SALU_CYCLE_1)
	s_mul_i32 s2, s1, s35
	s_mul_i32 s12, s1, s31
	s_mul_hi_u32 s13, s1, s30
	s_ashr_i32 s45, s1, 31
	s_add_i32 s12, s13, s12
	s_mul_i32 s13, s45, s30
	s_sub_i32 s2, s10, s2
	s_add_i32 s13, s12, s13
	s_mul_i32 s12, s2, s39
	s_mul_hi_u32 s14, s2, s38
	s_ashr_i32 s46, s2, 31
	s_add_i32 s14, s14, s12
	s_mul_i32 s12, s1, s30
	s_mul_i32 s15, s46, s38
	s_lshl_b64 s[12:13], s[12:13], 2
	s_add_i32 s15, s14, s15
	s_mul_i32 s14, s2, s38
	s_add_u32 s43, s16, s12
	s_addc_u32 s44, s17, s13
	s_lshl_b64 s[12:13], s[14:15], 2
	s_mul_hi_u32 s14, s1, s18
	s_add_u32 s12, s43, s12
	s_addc_u32 s13, s44, s13
	s_load_b32 s47, s[12:13], 0x0
	s_load_b32 s48, s[40:41], 0x4
	s_mul_i32 s13, s1, s19
	s_mul_i32 s15, s45, s18
	s_add_i32 s13, s14, s13
	s_mul_i32 s12, s1, s18
	s_add_i32 s13, s13, s15
	s_mul_i32 s43, s2, s21
	s_lshl_b64 s[12:13], s[12:13], 1
	s_mul_hi_u32 s44, s2, s20
	s_mul_i32 s15, s46, s20
	s_mul_i32 s14, s2, s20
	;; [unrolled: 1-line block ×5, first 2 shown]
	s_waitcnt lgkmcnt(0)
	s_ashr_i32 s50, s47, 31
	s_add_u32 s51, s28, s12
	s_addc_u32 s52, s29, s13
	s_add_i32 s12, s44, s43
	s_mul_i32 s53, s47, s23
	s_add_i32 s15, s12, s15
	s_mul_hi_u32 s54, s47, s22
	s_lshl_b64 s[12:13], s[14:15], 1
	s_mul_i32 s50, s50, s22
	s_add_u32 s43, s51, s12
	s_addc_u32 s44, s52, s13
	s_add_i32 s12, s54, s53
	s_mul_i32 s47, s47, s22
	s_add_i32 s12, s12, s50
	s_mul_hi_u32 s14, s1, s24
	s_add_u32 s13, s8, s47
	s_addc_u32 s12, s9, s12
	s_add_i32 s14, s14, s49
	s_mul_i32 s1, s1, s24
	s_add_i32 s14, s14, s45
	s_add_u32 s1, s13, s1
	s_mul_i32 s13, s2, s27
	s_mul_hi_u32 s15, s2, s26
	s_addc_u32 s14, s12, s14
	s_add_i32 s12, s15, s13
	s_mul_i32 s2, s2, s26
	s_add_i32 s13, s12, s46
	s_add_u32 s12, s1, s2
	s_mul_i32 s2, s48, s37
	s_addc_u32 s13, s14, s13
	s_lshl_b64 s[14:15], s[2:3], 27
	s_mov_b32 s45, 0
	s_branch .LBB37_6
.LBB37_5:                               ;   in Loop: Header=BB37_6 Depth=2
	s_or_b32 exec_lo, exec_lo, s1
	v_add_co_u32 v6, vcc_lo, v6, s2
	v_add_co_ci_u32_e32 v7, vcc_lo, 0, v7, vcc_lo
	v_add_co_u32 v4, s1, v4, s14
	s_delay_alu instid0(VALU_DEP_1) | instskip(NEXT) | instid1(VALU_DEP_3)
	v_add_co_ci_u32_e64 v5, s1, s15, v5, s1
	v_cmp_le_i64_e32 vcc_lo, s[4:5], v[6:7]
	global_store_d16_hi_b16 v[8:9], v10, off offset:32
	s_or_b32 s45, vcc_lo, s45
	s_delay_alu instid0(SALU_CYCLE_1)
	s_and_not1_b32 exec_lo, exec_lo, s45
	s_cbranch_execz .LBB37_2
.LBB37_6:                               ;   Parent Loop BB37_3 Depth=1
                                        ; =>  This Inner Loop Header: Depth=2
	v_mad_i64_i32 v[9:10], null, v5, 22, s[12:13]
	v_bfe_u32 v8, v6, 1, 4
	s_clause 0x1
	global_load_b32 v13, v[9:10], off
	global_load_u16 v11, v[9:10], off offset:4
	v_add_co_u32 v9, vcc_lo, v9, v8
	v_add_co_ci_u32_e32 v10, vcc_lo, 0, v10, vcc_lo
	global_load_u8 v12, v[9:10], off offset:6
	s_waitcnt vmcnt(1)
	v_perm_b32 v11, v13, v11, 0x1000706
	s_delay_alu instid0(VALU_DEP_1) | instskip(SKIP_2) | instid1(VALU_DEP_2)
	v_lshrrev_b32_e32 v9, v8, v11
	s_waitcnt vmcnt(0)
	v_or_b32_e32 v10, -16, v12
	v_lshlrev_b32_e32 v9, 4, v9
	s_delay_alu instid0(VALU_DEP_1) | instskip(NEXT) | instid1(VALU_DEP_1)
	v_and_b32_e32 v9, 16, v9
	v_add_nc_u32_e32 v10, v10, v9
	v_cvt_f32_f16_e32 v9, v13
	s_delay_alu instid0(VALU_DEP_2) | instskip(NEXT) | instid1(VALU_DEP_1)
	v_cvt_f32_i32_e32 v10, v10
	v_mul_f32_e32 v13, v9, v10
	s_delay_alu instid0(VALU_DEP_1) | instskip(NEXT) | instid1(VALU_DEP_1)
	v_and_b32_e32 v10, 0x7f800000, v13
	v_cmp_ne_u32_e32 vcc_lo, 0x7f800000, v10
                                        ; implicit-def: $vgpr10
	s_and_saveexec_b32 s1, vcc_lo
	s_delay_alu instid0(SALU_CYCLE_1)
	s_xor_b32 s1, exec_lo, s1
; %bb.7:                                ;   in Loop: Header=BB37_6 Depth=2
	v_bfe_u32 v10, v13, 16, 1
	s_delay_alu instid0(VALU_DEP_1)
	v_add3_u32 v10, v13, v10, 0x7fff
                                        ; implicit-def: $vgpr13
; %bb.8:                                ;   in Loop: Header=BB37_6 Depth=2
	s_and_not1_saveexec_b32 s1, s1
; %bb.9:                                ;   in Loop: Header=BB37_6 Depth=2
	v_and_b32_e32 v10, 0xffff, v13
	v_or_b32_e32 v14, 0x10000, v13
	s_delay_alu instid0(VALU_DEP_2) | instskip(NEXT) | instid1(VALU_DEP_2)
	v_cmp_eq_u32_e32 vcc_lo, 0, v10
	v_cndmask_b32_e32 v10, v14, v13, vcc_lo
; %bb.10:                               ;   in Loop: Header=BB37_6 Depth=2
	s_or_b32 exec_lo, exec_lo, s1
	v_add_nc_u32_e32 v13, 12, v8
	v_lshrrev_b16 v12, 4, v12
	s_mov_b32 s1, exec_lo
	s_delay_alu instid0(VALU_DEP_2) | instskip(NEXT) | instid1(VALU_DEP_2)
	v_lshrrev_b32_e32 v11, v13, v11
	v_or_b32_e32 v12, -16, v12
	s_delay_alu instid0(VALU_DEP_2) | instskip(NEXT) | instid1(VALU_DEP_2)
	v_and_b32_e32 v11, 16, v11
	v_bfe_i32 v12, v12, 0, 16
	s_delay_alu instid0(VALU_DEP_1) | instskip(SKIP_1) | instid1(VALU_DEP_2)
	v_add_nc_u32_e32 v11, v11, v12
	v_and_or_b32 v12, 0xffffffe0, v6, v8
	v_cvt_f32_i32_e32 v8, v11
	s_delay_alu instid0(VALU_DEP_2) | instskip(NEXT) | instid1(VALU_DEP_2)
	v_ashrrev_i32_e32 v13, 31, v12
	v_mul_f32_e32 v11, v9, v8
	s_delay_alu instid0(VALU_DEP_2) | instskip(NEXT) | instid1(VALU_DEP_2)
	v_lshlrev_b64 v[8:9], 1, v[12:13]
	v_and_b32_e32 v12, 0x7f800000, v11
	s_delay_alu instid0(VALU_DEP_2) | instskip(NEXT) | instid1(VALU_DEP_3)
	v_add_co_u32 v8, vcc_lo, s43, v8
	v_add_co_ci_u32_e32 v9, vcc_lo, s44, v9, vcc_lo
	global_store_d16_hi_b16 v[8:9], v10, off
                                        ; implicit-def: $vgpr10
	v_cmpx_ne_u32_e32 0x7f800000, v12
	s_xor_b32 s1, exec_lo, s1
; %bb.11:                               ;   in Loop: Header=BB37_6 Depth=2
	v_bfe_u32 v10, v11, 16, 1
	s_delay_alu instid0(VALU_DEP_1)
	v_add3_u32 v10, v11, v10, 0x7fff
                                        ; implicit-def: $vgpr11
; %bb.12:                               ;   in Loop: Header=BB37_6 Depth=2
	s_and_not1_saveexec_b32 s1, s1
	s_cbranch_execz .LBB37_5
; %bb.13:                               ;   in Loop: Header=BB37_6 Depth=2
	v_and_b32_e32 v10, 0xffff, v11
	v_or_b32_e32 v12, 0x10000, v11
	s_delay_alu instid0(VALU_DEP_2) | instskip(NEXT) | instid1(VALU_DEP_2)
	v_cmp_eq_u32_e32 vcc_lo, 0, v10
	v_cndmask_b32_e32 v10, v12, v11, vcc_lo
	s_branch .LBB37_5
.LBB37_14:
	s_nop 0
	s_sendmsg sendmsg(MSG_DEALLOC_VGPRS)
	s_endpgm
	.section	.rodata,"a",@progbits
	.p2align	6, 0x0
	.amdhsa_kernel _ZL10k_get_rowsILi32ELi2EXadL_ZL15dequantize_q5_0PKvliR15HIP_vector_typeIfLj2EEEE14__hip_bfloat16EvS1_PKiPT2_llS2_IjLj3EEmmmmmmmmm
		.amdhsa_group_segment_fixed_size 0
		.amdhsa_private_segment_fixed_size 0
		.amdhsa_kernarg_size 384
		.amdhsa_user_sgpr_count 13
		.amdhsa_user_sgpr_dispatch_ptr 0
		.amdhsa_user_sgpr_queue_ptr 0
		.amdhsa_user_sgpr_kernarg_segment_ptr 1
		.amdhsa_user_sgpr_dispatch_id 0
		.amdhsa_user_sgpr_private_segment_size 0
		.amdhsa_wavefront_size32 1
		.amdhsa_uses_dynamic_stack 0
		.amdhsa_enable_private_segment 0
		.amdhsa_system_sgpr_workgroup_id_x 1
		.amdhsa_system_sgpr_workgroup_id_y 1
		.amdhsa_system_sgpr_workgroup_id_z 1
		.amdhsa_system_sgpr_workgroup_info 0
		.amdhsa_system_vgpr_workitem_id 0
		.amdhsa_next_free_vgpr 15
		.amdhsa_next_free_sgpr 55
		.amdhsa_reserve_vcc 1
		.amdhsa_float_round_mode_32 0
		.amdhsa_float_round_mode_16_64 0
		.amdhsa_float_denorm_mode_32 3
		.amdhsa_float_denorm_mode_16_64 3
		.amdhsa_dx10_clamp 1
		.amdhsa_ieee_mode 1
		.amdhsa_fp16_overflow 0
		.amdhsa_workgroup_processor_mode 1
		.amdhsa_memory_ordered 1
		.amdhsa_forward_progress 0
		.amdhsa_shared_vgpr_count 0
		.amdhsa_exception_fp_ieee_invalid_op 0
		.amdhsa_exception_fp_denorm_src 0
		.amdhsa_exception_fp_ieee_div_zero 0
		.amdhsa_exception_fp_ieee_overflow 0
		.amdhsa_exception_fp_ieee_underflow 0
		.amdhsa_exception_fp_ieee_inexact 0
		.amdhsa_exception_int_div_zero 0
	.end_amdhsa_kernel
	.section	.text._ZL10k_get_rowsILi32ELi2EXadL_ZL15dequantize_q5_0PKvliR15HIP_vector_typeIfLj2EEEE14__hip_bfloat16EvS1_PKiPT2_llS2_IjLj3EEmmmmmmmmm,"axG",@progbits,_ZL10k_get_rowsILi32ELi2EXadL_ZL15dequantize_q5_0PKvliR15HIP_vector_typeIfLj2EEEE14__hip_bfloat16EvS1_PKiPT2_llS2_IjLj3EEmmmmmmmmm,comdat
.Lfunc_end37:
	.size	_ZL10k_get_rowsILi32ELi2EXadL_ZL15dequantize_q5_0PKvliR15HIP_vector_typeIfLj2EEEE14__hip_bfloat16EvS1_PKiPT2_llS2_IjLj3EEmmmmmmmmm, .Lfunc_end37-_ZL10k_get_rowsILi32ELi2EXadL_ZL15dequantize_q5_0PKvliR15HIP_vector_typeIfLj2EEEE14__hip_bfloat16EvS1_PKiPT2_llS2_IjLj3EEmmmmmmmmm
                                        ; -- End function
	.section	.AMDGPU.csdata,"",@progbits
; Kernel info:
; codeLenInByte = 1120
; NumSgprs: 57
; NumVgprs: 15
; ScratchSize: 0
; MemoryBound: 0
; FloatMode: 240
; IeeeMode: 1
; LDSByteSize: 0 bytes/workgroup (compile time only)
; SGPRBlocks: 7
; VGPRBlocks: 1
; NumSGPRsForWavesPerEU: 57
; NumVGPRsForWavesPerEU: 15
; Occupancy: 16
; WaveLimiterHint : 1
; COMPUTE_PGM_RSRC2:SCRATCH_EN: 0
; COMPUTE_PGM_RSRC2:USER_SGPR: 13
; COMPUTE_PGM_RSRC2:TRAP_HANDLER: 0
; COMPUTE_PGM_RSRC2:TGID_X_EN: 1
; COMPUTE_PGM_RSRC2:TGID_Y_EN: 1
; COMPUTE_PGM_RSRC2:TGID_Z_EN: 1
; COMPUTE_PGM_RSRC2:TIDIG_COMP_CNT: 0
	.section	.text._ZL10k_get_rowsILi32ELi2EXadL_ZL15dequantize_q5_1PKvliR15HIP_vector_typeIfLj2EEEE14__hip_bfloat16EvS1_PKiPT2_llS2_IjLj3EEmmmmmmmmm,"axG",@progbits,_ZL10k_get_rowsILi32ELi2EXadL_ZL15dequantize_q5_1PKvliR15HIP_vector_typeIfLj2EEEE14__hip_bfloat16EvS1_PKiPT2_llS2_IjLj3EEmmmmmmmmm,comdat
	.globl	_ZL10k_get_rowsILi32ELi2EXadL_ZL15dequantize_q5_1PKvliR15HIP_vector_typeIfLj2EEEE14__hip_bfloat16EvS1_PKiPT2_llS2_IjLj3EEmmmmmmmmm ; -- Begin function _ZL10k_get_rowsILi32ELi2EXadL_ZL15dequantize_q5_1PKvliR15HIP_vector_typeIfLj2EEEE14__hip_bfloat16EvS1_PKiPT2_llS2_IjLj3EEmmmmmmmmm
	.p2align	8
	.type	_ZL10k_get_rowsILi32ELi2EXadL_ZL15dequantize_q5_1PKvliR15HIP_vector_typeIfLj2EEEE14__hip_bfloat16EvS1_PKiPT2_llS2_IjLj3EEmmmmmmmmm,@function
_ZL10k_get_rowsILi32ELi2EXadL_ZL15dequantize_q5_1PKvliR15HIP_vector_typeIfLj2EEEE14__hip_bfloat16EvS1_PKiPT2_llS2_IjLj3EEmmmmmmmmm: ; @_ZL10k_get_rowsILi32ELi2EXadL_ZL15dequantize_q5_1PKvliR15HIP_vector_typeIfLj2EEEE14__hip_bfloat16EvS1_PKiPT2_llS2_IjLj3EEmmmmmmmmm
; %bb.0:
	s_clause 0x1
	s_load_b128 s[4:7], s[0:1], 0x18
	s_load_b64 s[34:35], s[0:1], 0x2c
	s_mov_b32 s2, s15
	s_mov_b32 s3, 0
	s_waitcnt lgkmcnt(0)
	s_mul_i32 s7, s35, s7
	s_mul_hi_u32 s8, s35, s6
	s_mul_i32 s6, s35, s6
	s_add_i32 s7, s8, s7
	s_delay_alu instid0(SALU_CYCLE_1) | instskip(NEXT) | instid1(VALU_DEP_1)
	v_cmp_le_i64_e64 s8, s[6:7], s[2:3]
	s_and_b32 vcc_lo, exec_lo, s8
	s_cbranch_vccnz .LBB38_14
; %bb.1:
	s_clause 0x5
	s_load_b64 s[36:37], s[0:1], 0x88
	s_load_b512 s[16:31], s[0:1], 0x38
	s_load_b64 s[38:39], s[0:1], 0x78
	s_load_b128 s[8:11], s[0:1], 0x0
	s_load_b64 s[42:43], s[0:1], 0x10
	s_load_b32 s33, s[0:1], 0x28
	s_add_u32 s40, s0, 0x80
	s_addc_u32 s41, s1, 0
	s_ashr_i32 s1, s13, 31
	v_mov_b32_e32 v1, 0
	s_waitcnt lgkmcnt(0)
	s_and_b32 s37, s37, 0xffff
	s_mul_i32 s12, s13, s29
	s_mul_hi_u32 s15, s13, s28
	s_mul_i32 s29, s1, s28
	s_mul_i32 s45, s1, s16
	s_add_i32 s1, s15, s12
	s_mul_i32 s0, s13, s28
	s_add_i32 s1, s1, s29
	s_mul_i32 s14, s14, s37
	s_lshl_b64 s[0:1], s[0:1], 2
	s_mul_i32 s28, s13, s17
	s_mul_hi_u32 s44, s13, s16
	v_add_lshl_u32 v0, s14, v0, 1
	s_mul_i32 s12, s13, s16
	s_add_u32 s16, s10, s0
	s_addc_u32 s17, s11, s1
	s_add_i32 s1, s44, s28
	v_cmp_gt_i64_e64 s0, s[4:5], v[0:1]
	s_add_i32 s13, s1, s45
	v_lshlrev_b64 v[2:3], 27, v[0:1]
	s_lshl_b64 s[10:11], s[12:13], 1
	s_delay_alu instid0(SALU_CYCLE_1)
	s_add_u32 s28, s42, s10
	s_addc_u32 s29, s43, s11
	s_mov_b64 s[10:11], s[2:3]
	s_branch .LBB38_3
.LBB38_2:                               ;   in Loop: Header=BB38_3 Depth=1
	s_or_b32 exec_lo, exec_lo, s42
	s_add_u32 s10, s10, s36
	s_addc_u32 s11, s11, 0
	s_delay_alu instid0(SALU_CYCLE_1) | instskip(NEXT) | instid1(VALU_DEP_1)
	v_cmp_ge_i64_e64 s1, s[10:11], s[6:7]
	s_and_b32 vcc_lo, exec_lo, s1
	s_cbranch_vccnz .LBB38_14
.LBB38_3:                               ; =>This Loop Header: Depth=1
                                        ;     Child Loop BB38_6 Depth 2
	s_and_saveexec_b32 s42, s0
	s_cbranch_execz .LBB38_2
; %bb.4:                                ;   in Loop: Header=BB38_3 Depth=1
	s_mul_hi_u32 s1, s10, s33
	v_dual_mov_b32 v5, v3 :: v_dual_mov_b32 v4, v2
	s_add_i32 s1, s1, s10
	v_dual_mov_b32 v7, v1 :: v_dual_mov_b32 v6, v0
	s_lshr_b32 s1, s1, s34
	s_delay_alu instid0(SALU_CYCLE_1)
	s_mul_i32 s2, s1, s35
	s_mul_i32 s12, s1, s31
	s_mul_hi_u32 s13, s1, s30
	s_ashr_i32 s45, s1, 31
	s_add_i32 s12, s13, s12
	s_mul_i32 s13, s45, s30
	s_sub_i32 s2, s10, s2
	s_add_i32 s13, s12, s13
	s_mul_i32 s12, s2, s39
	s_mul_hi_u32 s14, s2, s38
	s_ashr_i32 s46, s2, 31
	s_add_i32 s14, s14, s12
	s_mul_i32 s12, s1, s30
	s_mul_i32 s15, s46, s38
	s_lshl_b64 s[12:13], s[12:13], 2
	s_add_i32 s15, s14, s15
	s_mul_i32 s14, s2, s38
	s_add_u32 s43, s16, s12
	s_addc_u32 s44, s17, s13
	s_lshl_b64 s[12:13], s[14:15], 2
	s_mul_hi_u32 s14, s1, s18
	s_add_u32 s12, s43, s12
	s_addc_u32 s13, s44, s13
	s_load_b32 s47, s[12:13], 0x0
	s_load_b32 s48, s[40:41], 0x4
	s_mul_i32 s13, s1, s19
	s_mul_i32 s15, s45, s18
	s_add_i32 s13, s14, s13
	s_mul_i32 s12, s1, s18
	s_add_i32 s13, s13, s15
	s_mul_i32 s43, s2, s21
	s_lshl_b64 s[12:13], s[12:13], 1
	s_mul_hi_u32 s44, s2, s20
	s_mul_i32 s15, s46, s20
	s_mul_i32 s14, s2, s20
	;; [unrolled: 1-line block ×5, first 2 shown]
	s_waitcnt lgkmcnt(0)
	s_ashr_i32 s50, s47, 31
	s_add_u32 s51, s28, s12
	s_addc_u32 s52, s29, s13
	s_add_i32 s12, s44, s43
	s_mul_i32 s53, s47, s23
	s_add_i32 s15, s12, s15
	s_mul_hi_u32 s54, s47, s22
	s_lshl_b64 s[12:13], s[14:15], 1
	s_mul_i32 s50, s50, s22
	s_add_u32 s43, s51, s12
	s_addc_u32 s44, s52, s13
	s_add_i32 s12, s54, s53
	s_mul_i32 s47, s47, s22
	s_add_i32 s12, s12, s50
	s_mul_hi_u32 s14, s1, s24
	s_add_u32 s13, s8, s47
	s_addc_u32 s12, s9, s12
	s_add_i32 s14, s14, s49
	s_mul_i32 s1, s1, s24
	s_add_i32 s14, s14, s45
	s_add_u32 s1, s13, s1
	s_mul_i32 s13, s2, s27
	s_mul_hi_u32 s15, s2, s26
	s_addc_u32 s14, s12, s14
	s_add_i32 s12, s15, s13
	s_mul_i32 s2, s2, s26
	s_add_i32 s13, s12, s46
	s_add_u32 s12, s1, s2
	s_mul_i32 s2, s48, s37
	s_addc_u32 s13, s14, s13
	s_lshl_b64 s[14:15], s[2:3], 27
	s_mov_b32 s45, 0
	s_branch .LBB38_6
.LBB38_5:                               ;   in Loop: Header=BB38_6 Depth=2
	s_or_b32 exec_lo, exec_lo, s1
	v_add_co_u32 v6, vcc_lo, v6, s2
	v_add_co_ci_u32_e32 v7, vcc_lo, 0, v7, vcc_lo
	v_add_co_u32 v4, s1, v4, s14
	s_delay_alu instid0(VALU_DEP_1) | instskip(NEXT) | instid1(VALU_DEP_3)
	v_add_co_ci_u32_e64 v5, s1, s15, v5, s1
	v_cmp_le_i64_e32 vcc_lo, s[4:5], v[6:7]
	global_store_d16_hi_b16 v[8:9], v10, off offset:32
	s_or_b32 s45, vcc_lo, s45
	s_delay_alu instid0(SALU_CYCLE_1)
	s_and_not1_b32 exec_lo, exec_lo, s45
	s_cbranch_execz .LBB38_2
.LBB38_6:                               ;   Parent Loop BB38_3 Depth=1
                                        ; =>  This Inner Loop Header: Depth=2
	v_mad_i64_i32 v[9:10], null, v5, 24, s[12:13]
	v_bfe_u32 v8, v6, 1, 4
	s_clause 0x1
	global_load_u16 v13, v[9:10], off offset:6
	global_load_u16 v14, v[9:10], off offset:4
	v_add_co_u32 v11, vcc_lo, v9, v8
	v_add_co_ci_u32_e32 v12, vcc_lo, 0, v10, vcc_lo
	s_clause 0x1
	global_load_u8 v11, v[11:12], off offset:8
	global_load_b32 v9, v[9:10], off
	s_waitcnt vmcnt(3)
	v_lshrrev_b16 v10, 8, v13
	v_and_b32_e32 v12, 0xff, v13
	s_delay_alu instid0(VALU_DEP_2) | instskip(NEXT) | instid1(VALU_DEP_2)
	v_lshlrev_b32_e32 v10, 24, v10
	v_lshlrev_b32_e32 v12, 16, v12
	s_waitcnt vmcnt(1)
	v_and_b32_e32 v13, 15, v11
	s_delay_alu instid0(VALU_DEP_2) | instskip(NEXT) | instid1(VALU_DEP_1)
	v_or3_b32 v12, v12, v14, v10
	v_lshrrev_b32_e32 v10, v8, v12
	s_delay_alu instid0(VALU_DEP_1) | instskip(NEXT) | instid1(VALU_DEP_1)
	v_lshlrev_b32_e32 v10, 4, v10
	v_and_or_b32 v10, v10, 16, v13
	s_delay_alu instid0(VALU_DEP_1) | instskip(SKIP_1) | instid1(VALU_DEP_1)
	v_cvt_f32_ubyte0_e32 v10, v10
	s_waitcnt vmcnt(0)
	v_fma_mix_f32 v13, v9, v10, v9 op_sel:[0,0,1] op_sel_hi:[1,0,1]
	s_delay_alu instid0(VALU_DEP_1) | instskip(NEXT) | instid1(VALU_DEP_1)
	v_and_b32_e32 v10, 0x7f800000, v13
	v_cmp_ne_u32_e32 vcc_lo, 0x7f800000, v10
                                        ; implicit-def: $vgpr10
	s_and_saveexec_b32 s1, vcc_lo
	s_delay_alu instid0(SALU_CYCLE_1)
	s_xor_b32 s1, exec_lo, s1
; %bb.7:                                ;   in Loop: Header=BB38_6 Depth=2
	v_bfe_u32 v10, v13, 16, 1
	s_delay_alu instid0(VALU_DEP_1)
	v_add3_u32 v10, v13, v10, 0x7fff
                                        ; implicit-def: $vgpr13
; %bb.8:                                ;   in Loop: Header=BB38_6 Depth=2
	s_and_not1_saveexec_b32 s1, s1
; %bb.9:                                ;   in Loop: Header=BB38_6 Depth=2
	v_and_b32_e32 v10, 0xffff, v13
	v_or_b32_e32 v14, 0x10000, v13
	s_delay_alu instid0(VALU_DEP_2) | instskip(NEXT) | instid1(VALU_DEP_2)
	v_cmp_eq_u32_e32 vcc_lo, 0, v10
	v_cndmask_b32_e32 v10, v14, v13, vcc_lo
; %bb.10:                               ;   in Loop: Header=BB38_6 Depth=2
	s_or_b32 exec_lo, exec_lo, s1
	v_add_nc_u32_e32 v13, 12, v8
	v_lshrrev_b16 v11, 4, v11
	v_and_or_b32 v8, 0xffffffe0, v6, v8
	v_cvt_f32_f16_e32 v14, v9
	s_mov_b32 s1, exec_lo
	v_lshrrev_b32_e32 v12, v13, v12
	v_lshrrev_b32_e32 v13, 16, v9
	v_ashrrev_i32_e32 v9, 31, v8
	s_delay_alu instid0(VALU_DEP_3) | instskip(NEXT) | instid1(VALU_DEP_3)
	v_and_or_b32 v12, v12, 16, v11
	v_cvt_f32_f16_e32 v11, v13
	s_delay_alu instid0(VALU_DEP_3) | instskip(NEXT) | instid1(VALU_DEP_3)
	v_lshlrev_b64 v[8:9], 1, v[8:9]
	v_cvt_f32_ubyte0_e32 v12, v12
	s_delay_alu instid0(VALU_DEP_2) | instskip(NEXT) | instid1(VALU_DEP_2)
	v_add_co_u32 v8, vcc_lo, s43, v8
	v_fmac_f32_e32 v11, v14, v12
	s_delay_alu instid0(VALU_DEP_4) | instskip(NEXT) | instid1(VALU_DEP_2)
	v_add_co_ci_u32_e32 v9, vcc_lo, s44, v9, vcc_lo
	v_and_b32_e32 v12, 0x7f800000, v11
	global_store_d16_hi_b16 v[8:9], v10, off
                                        ; implicit-def: $vgpr10
	v_cmpx_ne_u32_e32 0x7f800000, v12
	s_xor_b32 s1, exec_lo, s1
; %bb.11:                               ;   in Loop: Header=BB38_6 Depth=2
	v_bfe_u32 v10, v11, 16, 1
	s_delay_alu instid0(VALU_DEP_1)
	v_add3_u32 v10, v11, v10, 0x7fff
                                        ; implicit-def: $vgpr11
; %bb.12:                               ;   in Loop: Header=BB38_6 Depth=2
	s_and_not1_saveexec_b32 s1, s1
	s_cbranch_execz .LBB38_5
; %bb.13:                               ;   in Loop: Header=BB38_6 Depth=2
	v_and_b32_e32 v10, 0xffff, v11
	v_or_b32_e32 v12, 0x10000, v11
	s_delay_alu instid0(VALU_DEP_2) | instskip(NEXT) | instid1(VALU_DEP_2)
	v_cmp_eq_u32_e32 vcc_lo, 0, v10
	v_cndmask_b32_e32 v10, v12, v11, vcc_lo
	s_branch .LBB38_5
.LBB38_14:
	s_nop 0
	s_sendmsg sendmsg(MSG_DEALLOC_VGPRS)
	s_endpgm
	.section	.rodata,"a",@progbits
	.p2align	6, 0x0
	.amdhsa_kernel _ZL10k_get_rowsILi32ELi2EXadL_ZL15dequantize_q5_1PKvliR15HIP_vector_typeIfLj2EEEE14__hip_bfloat16EvS1_PKiPT2_llS2_IjLj3EEmmmmmmmmm
		.amdhsa_group_segment_fixed_size 0
		.amdhsa_private_segment_fixed_size 0
		.amdhsa_kernarg_size 384
		.amdhsa_user_sgpr_count 13
		.amdhsa_user_sgpr_dispatch_ptr 0
		.amdhsa_user_sgpr_queue_ptr 0
		.amdhsa_user_sgpr_kernarg_segment_ptr 1
		.amdhsa_user_sgpr_dispatch_id 0
		.amdhsa_user_sgpr_private_segment_size 0
		.amdhsa_wavefront_size32 1
		.amdhsa_uses_dynamic_stack 0
		.amdhsa_enable_private_segment 0
		.amdhsa_system_sgpr_workgroup_id_x 1
		.amdhsa_system_sgpr_workgroup_id_y 1
		.amdhsa_system_sgpr_workgroup_id_z 1
		.amdhsa_system_sgpr_workgroup_info 0
		.amdhsa_system_vgpr_workitem_id 0
		.amdhsa_next_free_vgpr 15
		.amdhsa_next_free_sgpr 55
		.amdhsa_reserve_vcc 1
		.amdhsa_float_round_mode_32 0
		.amdhsa_float_round_mode_16_64 0
		.amdhsa_float_denorm_mode_32 3
		.amdhsa_float_denorm_mode_16_64 3
		.amdhsa_dx10_clamp 1
		.amdhsa_ieee_mode 1
		.amdhsa_fp16_overflow 0
		.amdhsa_workgroup_processor_mode 1
		.amdhsa_memory_ordered 1
		.amdhsa_forward_progress 0
		.amdhsa_shared_vgpr_count 0
		.amdhsa_exception_fp_ieee_invalid_op 0
		.amdhsa_exception_fp_denorm_src 0
		.amdhsa_exception_fp_ieee_div_zero 0
		.amdhsa_exception_fp_ieee_overflow 0
		.amdhsa_exception_fp_ieee_underflow 0
		.amdhsa_exception_fp_ieee_inexact 0
		.amdhsa_exception_int_div_zero 0
	.end_amdhsa_kernel
	.section	.text._ZL10k_get_rowsILi32ELi2EXadL_ZL15dequantize_q5_1PKvliR15HIP_vector_typeIfLj2EEEE14__hip_bfloat16EvS1_PKiPT2_llS2_IjLj3EEmmmmmmmmm,"axG",@progbits,_ZL10k_get_rowsILi32ELi2EXadL_ZL15dequantize_q5_1PKvliR15HIP_vector_typeIfLj2EEEE14__hip_bfloat16EvS1_PKiPT2_llS2_IjLj3EEmmmmmmmmm,comdat
.Lfunc_end38:
	.size	_ZL10k_get_rowsILi32ELi2EXadL_ZL15dequantize_q5_1PKvliR15HIP_vector_typeIfLj2EEEE14__hip_bfloat16EvS1_PKiPT2_llS2_IjLj3EEmmmmmmmmm, .Lfunc_end38-_ZL10k_get_rowsILi32ELi2EXadL_ZL15dequantize_q5_1PKvliR15HIP_vector_typeIfLj2EEEE14__hip_bfloat16EvS1_PKiPT2_llS2_IjLj3EEmmmmmmmmm
                                        ; -- End function
	.section	.AMDGPU.csdata,"",@progbits
; Kernel info:
; codeLenInByte = 1152
; NumSgprs: 57
; NumVgprs: 15
; ScratchSize: 0
; MemoryBound: 0
; FloatMode: 240
; IeeeMode: 1
; LDSByteSize: 0 bytes/workgroup (compile time only)
; SGPRBlocks: 7
; VGPRBlocks: 1
; NumSGPRsForWavesPerEU: 57
; NumVGPRsForWavesPerEU: 15
; Occupancy: 16
; WaveLimiterHint : 1
; COMPUTE_PGM_RSRC2:SCRATCH_EN: 0
; COMPUTE_PGM_RSRC2:USER_SGPR: 13
; COMPUTE_PGM_RSRC2:TRAP_HANDLER: 0
; COMPUTE_PGM_RSRC2:TGID_X_EN: 1
; COMPUTE_PGM_RSRC2:TGID_Y_EN: 1
; COMPUTE_PGM_RSRC2:TGID_Z_EN: 1
; COMPUTE_PGM_RSRC2:TIDIG_COMP_CNT: 0
	.section	.text._ZL10k_get_rowsILi32ELi1EXadL_ZL15dequantize_q8_0PKvliR15HIP_vector_typeIfLj2EEEE14__hip_bfloat16EvS1_PKiPT2_llS2_IjLj3EEmmmmmmmmm,"axG",@progbits,_ZL10k_get_rowsILi32ELi1EXadL_ZL15dequantize_q8_0PKvliR15HIP_vector_typeIfLj2EEEE14__hip_bfloat16EvS1_PKiPT2_llS2_IjLj3EEmmmmmmmmm,comdat
	.globl	_ZL10k_get_rowsILi32ELi1EXadL_ZL15dequantize_q8_0PKvliR15HIP_vector_typeIfLj2EEEE14__hip_bfloat16EvS1_PKiPT2_llS2_IjLj3EEmmmmmmmmm ; -- Begin function _ZL10k_get_rowsILi32ELi1EXadL_ZL15dequantize_q8_0PKvliR15HIP_vector_typeIfLj2EEEE14__hip_bfloat16EvS1_PKiPT2_llS2_IjLj3EEmmmmmmmmm
	.p2align	8
	.type	_ZL10k_get_rowsILi32ELi1EXadL_ZL15dequantize_q8_0PKvliR15HIP_vector_typeIfLj2EEEE14__hip_bfloat16EvS1_PKiPT2_llS2_IjLj3EEmmmmmmmmm,@function
_ZL10k_get_rowsILi32ELi1EXadL_ZL15dequantize_q8_0PKvliR15HIP_vector_typeIfLj2EEEE14__hip_bfloat16EvS1_PKiPT2_llS2_IjLj3EEmmmmmmmmm: ; @_ZL10k_get_rowsILi32ELi1EXadL_ZL15dequantize_q8_0PKvliR15HIP_vector_typeIfLj2EEEE14__hip_bfloat16EvS1_PKiPT2_llS2_IjLj3EEmmmmmmmmm
; %bb.0:
	s_clause 0x1
	s_load_b128 s[4:7], s[0:1], 0x18
	s_load_b64 s[34:35], s[0:1], 0x2c
	s_mov_b32 s2, s15
	s_mov_b32 s3, 0
	s_waitcnt lgkmcnt(0)
	s_mul_i32 s7, s35, s7
	s_mul_hi_u32 s8, s35, s6
	s_mul_i32 s6, s35, s6
	s_add_i32 s7, s8, s7
	s_delay_alu instid0(SALU_CYCLE_1) | instskip(NEXT) | instid1(VALU_DEP_1)
	v_cmp_le_i64_e64 s8, s[6:7], s[2:3]
	s_and_b32 vcc_lo, exec_lo, s8
	s_cbranch_vccnz .LBB39_14
; %bb.1:
	s_clause 0x5
	s_load_b64 s[36:37], s[0:1], 0x88
	s_load_b512 s[16:31], s[0:1], 0x38
	s_load_b64 s[38:39], s[0:1], 0x78
	s_load_b128 s[8:11], s[0:1], 0x0
	s_load_b64 s[42:43], s[0:1], 0x10
	s_load_b32 s33, s[0:1], 0x28
	s_add_u32 s40, s0, 0x80
	s_addc_u32 s41, s1, 0
	s_ashr_i32 s1, s13, 31
	v_mov_b32_e32 v1, 0
	s_waitcnt lgkmcnt(0)
	s_and_b32 s37, s37, 0xffff
	s_mul_i32 s12, s13, s29
	s_mul_hi_u32 s15, s13, s28
	s_mul_i32 s29, s1, s28
	s_mul_i32 s45, s1, s16
	s_add_i32 s1, s15, s12
	s_mul_i32 s0, s13, s28
	s_add_i32 s1, s1, s29
	s_mul_i32 s14, s14, s37
	s_lshl_b64 s[0:1], s[0:1], 2
	s_mul_i32 s28, s13, s17
	s_mul_hi_u32 s44, s13, s16
	v_add_lshl_u32 v0, s14, v0, 1
	s_mul_i32 s12, s13, s16
	s_add_u32 s16, s10, s0
	s_addc_u32 s17, s11, s1
	s_add_i32 s1, s44, s28
	v_cmp_gt_i64_e64 s0, s[4:5], v[0:1]
	s_add_i32 s13, s1, s45
	v_lshlrev_b64 v[4:5], 27, v[0:1]
	v_dual_mov_b32 v2, v1 :: v_dual_mov_b32 v3, v0
	s_lshl_b64 s[10:11], s[12:13], 1
	s_delay_alu instid0(SALU_CYCLE_1)
	s_add_u32 s28, s42, s10
	s_addc_u32 s29, s43, s11
	s_mov_b64 s[10:11], s[2:3]
	s_branch .LBB39_3
.LBB39_2:                               ;   in Loop: Header=BB39_3 Depth=1
	s_or_b32 exec_lo, exec_lo, s42
	s_add_u32 s10, s10, s36
	s_addc_u32 s11, s11, 0
	s_delay_alu instid0(SALU_CYCLE_1) | instskip(NEXT) | instid1(VALU_DEP_1)
	v_cmp_ge_i64_e64 s1, s[10:11], s[6:7]
	s_and_b32 vcc_lo, exec_lo, s1
	s_cbranch_vccnz .LBB39_14
.LBB39_3:                               ; =>This Loop Header: Depth=1
                                        ;     Child Loop BB39_6 Depth 2
	s_and_saveexec_b32 s42, s0
	s_cbranch_execz .LBB39_2
; %bb.4:                                ;   in Loop: Header=BB39_3 Depth=1
	s_mul_hi_u32 s1, s10, s33
	v_dual_mov_b32 v7, v3 :: v_dual_mov_b32 v6, v2
	s_add_i32 s1, s1, s10
	v_dual_mov_b32 v9, v5 :: v_dual_mov_b32 v8, v4
	s_lshr_b32 s1, s1, s34
	v_dual_mov_b32 v11, v1 :: v_dual_mov_b32 v10, v0
	s_mul_i32 s2, s1, s35
	s_mul_i32 s12, s1, s31
	s_mul_hi_u32 s13, s1, s30
	s_ashr_i32 s45, s1, 31
	s_add_i32 s12, s13, s12
	s_mul_i32 s13, s45, s30
	s_sub_i32 s2, s10, s2
	s_add_i32 s13, s12, s13
	s_mul_i32 s12, s2, s39
	s_mul_hi_u32 s14, s2, s38
	s_ashr_i32 s46, s2, 31
	s_add_i32 s14, s14, s12
	s_mul_i32 s12, s1, s30
	s_mul_i32 s15, s46, s38
	s_lshl_b64 s[12:13], s[12:13], 2
	s_add_i32 s15, s14, s15
	s_mul_i32 s14, s2, s38
	s_add_u32 s43, s16, s12
	s_addc_u32 s44, s17, s13
	s_lshl_b64 s[12:13], s[14:15], 2
	s_mul_hi_u32 s14, s1, s18
	s_add_u32 s12, s43, s12
	s_addc_u32 s13, s44, s13
	s_load_b32 s47, s[12:13], 0x0
	s_load_b32 s48, s[40:41], 0x4
	s_mul_i32 s13, s1, s19
	s_mul_i32 s15, s45, s18
	s_add_i32 s13, s14, s13
	s_mul_i32 s12, s1, s18
	s_add_i32 s13, s13, s15
	s_mul_i32 s43, s2, s21
	s_lshl_b64 s[12:13], s[12:13], 1
	s_mul_hi_u32 s44, s2, s20
	s_mul_i32 s15, s46, s20
	s_mul_i32 s14, s2, s20
	;; [unrolled: 1-line block ×5, first 2 shown]
	s_waitcnt lgkmcnt(0)
	s_ashr_i32 s50, s47, 31
	s_add_u32 s51, s28, s12
	s_addc_u32 s52, s29, s13
	s_add_i32 s12, s44, s43
	s_mul_i32 s53, s47, s23
	s_add_i32 s15, s12, s15
	s_mul_hi_u32 s54, s47, s22
	s_lshl_b64 s[12:13], s[14:15], 1
	s_mul_i32 s50, s50, s22
	s_add_u32 s43, s51, s12
	s_addc_u32 s44, s52, s13
	s_add_i32 s12, s54, s53
	s_mul_i32 s47, s47, s22
	s_add_i32 s12, s12, s50
	s_mul_hi_u32 s14, s1, s24
	s_add_u32 s13, s8, s47
	s_addc_u32 s12, s9, s12
	s_add_i32 s14, s14, s49
	s_mul_i32 s1, s1, s24
	s_add_i32 s14, s14, s45
	s_add_u32 s1, s13, s1
	s_mul_i32 s13, s2, s27
	s_mul_hi_u32 s15, s2, s26
	s_addc_u32 s14, s12, s14
	s_add_i32 s12, s15, s13
	s_mul_i32 s2, s2, s26
	s_add_i32 s13, s12, s46
	s_add_u32 s12, s1, s2
	s_mul_i32 s2, s48, s37
	s_addc_u32 s13, s14, s13
	s_lshl_b64 s[14:15], s[2:3], 27
	s_mov_b32 s45, 0
	s_mov_b32 s46, s2
	s_branch .LBB39_6
.LBB39_5:                               ;   in Loop: Header=BB39_6 Depth=2
	s_or_b32 exec_lo, exec_lo, s1
	v_add_co_u32 v10, vcc_lo, v10, s2
	v_add_co_ci_u32_e32 v11, vcc_lo, 0, v11, vcc_lo
	v_add_co_u32 v8, vcc_lo, v8, s14
	v_add_co_ci_u32_e32 v9, vcc_lo, s15, v9, vcc_lo
	s_delay_alu instid0(VALU_DEP_3) | instskip(SKIP_1) | instid1(VALU_DEP_1)
	v_cmp_le_i64_e32 vcc_lo, s[4:5], v[10:11]
	v_add_co_u32 v6, s1, v6, 0
	v_add_co_ci_u32_e64 v7, s1, s46, v7, s1
	global_store_d16_hi_b16 v[12:13], v14, off offset:2
	s_or_b32 s45, vcc_lo, s45
	s_delay_alu instid0(SALU_CYCLE_1)
	s_and_not1_b32 exec_lo, exec_lo, s45
	s_cbranch_execz .LBB39_2
.LBB39_6:                               ;   Parent Loop BB39_3 Depth=1
                                        ; =>  This Inner Loop Header: Depth=2
	v_mad_i64_i32 v[12:13], null, v9, 34, s[12:13]
	v_and_b32_e32 v14, 31, v10
	s_delay_alu instid0(VALU_DEP_1) | instskip(NEXT) | instid1(VALU_DEP_3)
	v_add_co_u32 v14, vcc_lo, v12, v14
	v_add_co_ci_u32_e32 v15, vcc_lo, 0, v13, vcc_lo
	s_clause 0x2
	global_load_u16 v12, v[12:13], off
	global_load_i8 v16, v[14:15], off offset:2
	global_load_u8 v13, v[14:15], off offset:3
	s_waitcnt vmcnt(2)
	v_cvt_f32_f16_e32 v12, v12
	s_waitcnt vmcnt(1)
	v_cvt_f32_i32_e32 v14, v16
	s_delay_alu instid0(VALU_DEP_1) | instskip(NEXT) | instid1(VALU_DEP_1)
	v_mul_f32_e32 v15, v12, v14
	v_and_b32_e32 v14, 0x7f800000, v15
	s_delay_alu instid0(VALU_DEP_1) | instskip(SKIP_1) | instid1(SALU_CYCLE_1)
	v_cmp_ne_u32_e32 vcc_lo, 0x7f800000, v14
                                        ; implicit-def: $vgpr14
	s_and_saveexec_b32 s1, vcc_lo
	s_xor_b32 s1, exec_lo, s1
; %bb.7:                                ;   in Loop: Header=BB39_6 Depth=2
	v_bfe_u32 v14, v15, 16, 1
	s_delay_alu instid0(VALU_DEP_1)
	v_add3_u32 v14, v15, v14, 0x7fff
                                        ; implicit-def: $vgpr15
; %bb.8:                                ;   in Loop: Header=BB39_6 Depth=2
	s_and_not1_saveexec_b32 s1, s1
; %bb.9:                                ;   in Loop: Header=BB39_6 Depth=2
	v_and_b32_e32 v14, 0xffff, v15
	v_or_b32_e32 v16, 0x10000, v15
	s_delay_alu instid0(VALU_DEP_2) | instskip(NEXT) | instid1(VALU_DEP_2)
	v_cmp_eq_u32_e32 vcc_lo, 0, v14
	v_cndmask_b32_e32 v14, v16, v15, vcc_lo
; %bb.10:                               ;   in Loop: Header=BB39_6 Depth=2
	s_or_b32 exec_lo, exec_lo, s1
	s_waitcnt vmcnt(0)
	v_bfe_i32 v13, v13, 0, 8
	s_mov_b32 s1, exec_lo
	s_delay_alu instid0(VALU_DEP_1) | instskip(NEXT) | instid1(VALU_DEP_1)
	v_bfe_i32 v13, v13, 0, 16
	v_cvt_f32_i32_e32 v13, v13
	s_delay_alu instid0(VALU_DEP_1) | instskip(SKIP_1) | instid1(VALU_DEP_2)
	v_mul_f32_e32 v15, v12, v13
	v_ashrrev_i64 v[12:13], 31, v[6:7]
	v_and_b32_e32 v16, 0x7f800000, v15
	s_delay_alu instid0(VALU_DEP_2) | instskip(NEXT) | instid1(VALU_DEP_3)
	v_add_co_u32 v12, vcc_lo, s43, v12
	v_add_co_ci_u32_e32 v13, vcc_lo, s44, v13, vcc_lo
	global_store_d16_hi_b16 v[12:13], v14, off
                                        ; implicit-def: $vgpr14
	v_cmpx_ne_u32_e32 0x7f800000, v16
	s_xor_b32 s1, exec_lo, s1
; %bb.11:                               ;   in Loop: Header=BB39_6 Depth=2
	v_bfe_u32 v14, v15, 16, 1
	s_delay_alu instid0(VALU_DEP_1)
	v_add3_u32 v14, v15, v14, 0x7fff
                                        ; implicit-def: $vgpr15
; %bb.12:                               ;   in Loop: Header=BB39_6 Depth=2
	s_and_not1_saveexec_b32 s1, s1
	s_cbranch_execz .LBB39_5
; %bb.13:                               ;   in Loop: Header=BB39_6 Depth=2
	v_and_b32_e32 v14, 0xffff, v15
	v_or_b32_e32 v16, 0x10000, v15
	s_delay_alu instid0(VALU_DEP_2) | instskip(NEXT) | instid1(VALU_DEP_2)
	v_cmp_eq_u32_e32 vcc_lo, 0, v14
	v_cndmask_b32_e32 v14, v16, v15, vcc_lo
	s_branch .LBB39_5
.LBB39_14:
	s_nop 0
	s_sendmsg sendmsg(MSG_DEALLOC_VGPRS)
	s_endpgm
	.section	.rodata,"a",@progbits
	.p2align	6, 0x0
	.amdhsa_kernel _ZL10k_get_rowsILi32ELi1EXadL_ZL15dequantize_q8_0PKvliR15HIP_vector_typeIfLj2EEEE14__hip_bfloat16EvS1_PKiPT2_llS2_IjLj3EEmmmmmmmmm
		.amdhsa_group_segment_fixed_size 0
		.amdhsa_private_segment_fixed_size 0
		.amdhsa_kernarg_size 384
		.amdhsa_user_sgpr_count 13
		.amdhsa_user_sgpr_dispatch_ptr 0
		.amdhsa_user_sgpr_queue_ptr 0
		.amdhsa_user_sgpr_kernarg_segment_ptr 1
		.amdhsa_user_sgpr_dispatch_id 0
		.amdhsa_user_sgpr_private_segment_size 0
		.amdhsa_wavefront_size32 1
		.amdhsa_uses_dynamic_stack 0
		.amdhsa_enable_private_segment 0
		.amdhsa_system_sgpr_workgroup_id_x 1
		.amdhsa_system_sgpr_workgroup_id_y 1
		.amdhsa_system_sgpr_workgroup_id_z 1
		.amdhsa_system_sgpr_workgroup_info 0
		.amdhsa_system_vgpr_workitem_id 0
		.amdhsa_next_free_vgpr 17
		.amdhsa_next_free_sgpr 55
		.amdhsa_reserve_vcc 1
		.amdhsa_float_round_mode_32 0
		.amdhsa_float_round_mode_16_64 0
		.amdhsa_float_denorm_mode_32 3
		.amdhsa_float_denorm_mode_16_64 3
		.amdhsa_dx10_clamp 1
		.amdhsa_ieee_mode 1
		.amdhsa_fp16_overflow 0
		.amdhsa_workgroup_processor_mode 1
		.amdhsa_memory_ordered 1
		.amdhsa_forward_progress 0
		.amdhsa_shared_vgpr_count 0
		.amdhsa_exception_fp_ieee_invalid_op 0
		.amdhsa_exception_fp_denorm_src 0
		.amdhsa_exception_fp_ieee_div_zero 0
		.amdhsa_exception_fp_ieee_overflow 0
		.amdhsa_exception_fp_ieee_underflow 0
		.amdhsa_exception_fp_ieee_inexact 0
		.amdhsa_exception_int_div_zero 0
	.end_amdhsa_kernel
	.section	.text._ZL10k_get_rowsILi32ELi1EXadL_ZL15dequantize_q8_0PKvliR15HIP_vector_typeIfLj2EEEE14__hip_bfloat16EvS1_PKiPT2_llS2_IjLj3EEmmmmmmmmm,"axG",@progbits,_ZL10k_get_rowsILi32ELi1EXadL_ZL15dequantize_q8_0PKvliR15HIP_vector_typeIfLj2EEEE14__hip_bfloat16EvS1_PKiPT2_llS2_IjLj3EEmmmmmmmmm,comdat
.Lfunc_end39:
	.size	_ZL10k_get_rowsILi32ELi1EXadL_ZL15dequantize_q8_0PKvliR15HIP_vector_typeIfLj2EEEE14__hip_bfloat16EvS1_PKiPT2_llS2_IjLj3EEmmmmmmmmm, .Lfunc_end39-_ZL10k_get_rowsILi32ELi1EXadL_ZL15dequantize_q8_0PKvliR15HIP_vector_typeIfLj2EEEE14__hip_bfloat16EvS1_PKiPT2_llS2_IjLj3EEmmmmmmmmm
                                        ; -- End function
	.section	.AMDGPU.csdata,"",@progbits
; Kernel info:
; codeLenInByte = 1060
; NumSgprs: 57
; NumVgprs: 17
; ScratchSize: 0
; MemoryBound: 0
; FloatMode: 240
; IeeeMode: 1
; LDSByteSize: 0 bytes/workgroup (compile time only)
; SGPRBlocks: 7
; VGPRBlocks: 2
; NumSGPRsForWavesPerEU: 57
; NumVGPRsForWavesPerEU: 17
; Occupancy: 16
; WaveLimiterHint : 1
; COMPUTE_PGM_RSRC2:SCRATCH_EN: 0
; COMPUTE_PGM_RSRC2:USER_SGPR: 13
; COMPUTE_PGM_RSRC2:TRAP_HANDLER: 0
; COMPUTE_PGM_RSRC2:TGID_X_EN: 1
; COMPUTE_PGM_RSRC2:TGID_Y_EN: 1
; COMPUTE_PGM_RSRC2:TGID_Z_EN: 1
; COMPUTE_PGM_RSRC2:TIDIG_COMP_CNT: 0
	.section	.text._ZL21k_get_rows_back_floatIffEvPKT_PKiPT0_ll,"axG",@progbits,_ZL21k_get_rows_back_floatIffEvPKT_PKiPT0_ll,comdat
	.globl	_ZL21k_get_rows_back_floatIffEvPKT_PKiPT0_ll ; -- Begin function _ZL21k_get_rows_back_floatIffEvPKT_PKiPT0_ll
	.p2align	8
	.type	_ZL21k_get_rows_back_floatIffEvPKT_PKiPT0_ll,@function
_ZL21k_get_rows_back_floatIffEvPKT_PKiPT0_ll: ; @_ZL21k_get_rows_back_floatIffEvPKT_PKiPT0_ll
; %bb.0:
	s_clause 0x1
	s_load_b32 s8, s[0:1], 0x34
	s_load_b128 s[4:7], s[0:1], 0x18
	v_and_b32_e32 v1, 0x3ff, v0
	s_add_u32 s2, s0, 40
	s_addc_u32 s3, s1, 0
	s_waitcnt lgkmcnt(0)
	s_and_b32 s8, s8, 0xffff
	s_delay_alu instid0(SALU_CYCLE_1) | instskip(SKIP_1) | instid1(VALU_DEP_1)
	v_mad_u64_u32 v[4:5], null, s14, s8, v[1:2]
	s_mov_b32 s8, exec_lo
	v_ashrrev_i32_e32 v5, 31, v4
	s_delay_alu instid0(VALU_DEP_1)
	v_cmpx_gt_i64_e64 s[4:5], v[4:5]
	s_cbranch_execz .LBB40_8
; %bb.1:
	s_load_b32 s2, s[2:3], 0xc
	s_load_b64 s[8:9], s[0:1], 0x10
	v_bfe_u32 v0, v0, 10, 10
	v_cmp_lt_i64_e64 s3, s[6:7], 1
	s_delay_alu instid0(VALU_DEP_1) | instskip(SKIP_2) | instid1(SALU_CYCLE_1)
	s_and_b32 vcc_lo, exec_lo, s3
	s_waitcnt lgkmcnt(0)
	s_lshr_b32 s2, s2, 16
	v_mad_u64_u32 v[2:3], null, s15, s2, v[0:1]
	v_lshlrev_b64 v[0:1], 2, v[4:5]
	s_cbranch_vccnz .LBB40_6
; %bb.2:
	s_load_b128 s[0:3], s[0:1], 0x0
	v_mov_b32_e32 v5, 0
	s_waitcnt lgkmcnt(0)
	s_delay_alu instid0(VALU_DEP_2)
	v_add_co_u32 v3, vcc_lo, s0, v0
	v_add_co_ci_u32_e32 v4, vcc_lo, s1, v1, vcc_lo
	s_lshl_b64 s[0:1], s[4:5], 2
	s_branch .LBB40_4
	.p2align	6
.LBB40_3:                               ;   in Loop: Header=BB40_4 Depth=1
	s_or_b32 exec_lo, exec_lo, s10
	v_add_co_u32 v3, vcc_lo, v3, s0
	s_add_u32 s6, s6, -1
	v_add_co_ci_u32_e32 v4, vcc_lo, s1, v4, vcc_lo
	s_addc_u32 s7, s7, -1
	s_add_u32 s2, s2, 4
	s_addc_u32 s3, s3, 0
	s_cmp_eq_u64 s[6:7], 0
	s_cbranch_scc1 .LBB40_7
.LBB40_4:                               ; =>This Inner Loop Header: Depth=1
	s_load_b32 s10, s[2:3], 0x0
	s_waitcnt lgkmcnt(0)
	v_cmp_eq_u32_e32 vcc_lo, s10, v2
	s_and_saveexec_b32 s10, vcc_lo
	s_cbranch_execz .LBB40_3
; %bb.5:                                ;   in Loop: Header=BB40_4 Depth=1
	global_load_b32 v6, v[3:4], off
	s_waitcnt vmcnt(0)
	v_add_f32_e32 v5, v5, v6
	s_branch .LBB40_3
.LBB40_6:
	v_mov_b32_e32 v5, 0
.LBB40_7:
	s_delay_alu instid0(VALU_DEP_3) | instskip(SKIP_2) | instid1(VALU_DEP_3)
	v_ashrrev_i32_e32 v6, 31, v2
	v_mul_lo_u32 v7, v2, s5
	v_mad_u64_u32 v[3:4], null, v2, s4, 0
	v_mul_lo_u32 v2, v6, s4
	s_delay_alu instid0(VALU_DEP_1) | instskip(NEXT) | instid1(VALU_DEP_1)
	v_add3_u32 v4, v4, v7, v2
	v_lshlrev_b64 v[2:3], 2, v[3:4]
	s_delay_alu instid0(VALU_DEP_1) | instskip(NEXT) | instid1(VALU_DEP_2)
	v_add_co_u32 v2, vcc_lo, s8, v2
	v_add_co_ci_u32_e32 v3, vcc_lo, s9, v3, vcc_lo
	s_delay_alu instid0(VALU_DEP_2) | instskip(NEXT) | instid1(VALU_DEP_2)
	v_add_co_u32 v0, vcc_lo, v2, v0
	v_add_co_ci_u32_e32 v1, vcc_lo, v3, v1, vcc_lo
	global_store_b32 v[0:1], v5, off
.LBB40_8:
	s_nop 0
	s_sendmsg sendmsg(MSG_DEALLOC_VGPRS)
	s_endpgm
	.section	.rodata,"a",@progbits
	.p2align	6, 0x0
	.amdhsa_kernel _ZL21k_get_rows_back_floatIffEvPKT_PKiPT0_ll
		.amdhsa_group_segment_fixed_size 0
		.amdhsa_private_segment_fixed_size 0
		.amdhsa_kernarg_size 296
		.amdhsa_user_sgpr_count 14
		.amdhsa_user_sgpr_dispatch_ptr 0
		.amdhsa_user_sgpr_queue_ptr 0
		.amdhsa_user_sgpr_kernarg_segment_ptr 1
		.amdhsa_user_sgpr_dispatch_id 0
		.amdhsa_user_sgpr_private_segment_size 0
		.amdhsa_wavefront_size32 1
		.amdhsa_uses_dynamic_stack 0
		.amdhsa_enable_private_segment 0
		.amdhsa_system_sgpr_workgroup_id_x 1
		.amdhsa_system_sgpr_workgroup_id_y 1
		.amdhsa_system_sgpr_workgroup_id_z 0
		.amdhsa_system_sgpr_workgroup_info 0
		.amdhsa_system_vgpr_workitem_id 1
		.amdhsa_next_free_vgpr 8
		.amdhsa_next_free_sgpr 16
		.amdhsa_reserve_vcc 1
		.amdhsa_float_round_mode_32 0
		.amdhsa_float_round_mode_16_64 0
		.amdhsa_float_denorm_mode_32 3
		.amdhsa_float_denorm_mode_16_64 3
		.amdhsa_dx10_clamp 1
		.amdhsa_ieee_mode 1
		.amdhsa_fp16_overflow 0
		.amdhsa_workgroup_processor_mode 1
		.amdhsa_memory_ordered 1
		.amdhsa_forward_progress 0
		.amdhsa_shared_vgpr_count 0
		.amdhsa_exception_fp_ieee_invalid_op 0
		.amdhsa_exception_fp_denorm_src 0
		.amdhsa_exception_fp_ieee_div_zero 0
		.amdhsa_exception_fp_ieee_overflow 0
		.amdhsa_exception_fp_ieee_underflow 0
		.amdhsa_exception_fp_ieee_inexact 0
		.amdhsa_exception_int_div_zero 0
	.end_amdhsa_kernel
	.section	.text._ZL21k_get_rows_back_floatIffEvPKT_PKiPT0_ll,"axG",@progbits,_ZL21k_get_rows_back_floatIffEvPKT_PKiPT0_ll,comdat
.Lfunc_end40:
	.size	_ZL21k_get_rows_back_floatIffEvPKT_PKiPT0_ll, .Lfunc_end40-_ZL21k_get_rows_back_floatIffEvPKT_PKiPT0_ll
                                        ; -- End function
	.section	.AMDGPU.csdata,"",@progbits
; Kernel info:
; codeLenInByte = 384
; NumSgprs: 18
; NumVgprs: 8
; ScratchSize: 0
; MemoryBound: 0
; FloatMode: 240
; IeeeMode: 1
; LDSByteSize: 0 bytes/workgroup (compile time only)
; SGPRBlocks: 2
; VGPRBlocks: 0
; NumSGPRsForWavesPerEU: 18
; NumVGPRsForWavesPerEU: 8
; Occupancy: 16
; WaveLimiterHint : 0
; COMPUTE_PGM_RSRC2:SCRATCH_EN: 0
; COMPUTE_PGM_RSRC2:USER_SGPR: 14
; COMPUTE_PGM_RSRC2:TRAP_HANDLER: 0
; COMPUTE_PGM_RSRC2:TGID_X_EN: 1
; COMPUTE_PGM_RSRC2:TGID_Y_EN: 1
; COMPUTE_PGM_RSRC2:TGID_Z_EN: 0
; COMPUTE_PGM_RSRC2:TIDIG_COMP_CNT: 1
	.text
	.p2alignl 7, 3214868480
	.fill 96, 4, 3214868480
	.type	__hip_cuid_882dbaefe43399a8,@object ; @__hip_cuid_882dbaefe43399a8
	.section	.bss,"aw",@nobits
	.globl	__hip_cuid_882dbaefe43399a8
__hip_cuid_882dbaefe43399a8:
	.byte	0                               ; 0x0
	.size	__hip_cuid_882dbaefe43399a8, 1

	.ident	"AMD clang version 19.0.0git (https://github.com/RadeonOpenCompute/llvm-project roc-6.4.0 25133 c7fe45cf4b819c5991fe208aaa96edf142730f1d)"
	.section	".note.GNU-stack","",@progbits
	.addrsig
	.addrsig_sym __hip_cuid_882dbaefe43399a8
	.amdgpu_metadata
---
amdhsa.kernels:
  - .args:
      - .address_space:  global
        .offset:         0
        .size:           8
        .value_kind:     global_buffer
      - .address_space:  global
        .offset:         8
        .size:           8
        .value_kind:     global_buffer
      - .address_space:  global
        .offset:         16
        .size:           8
        .value_kind:     global_buffer
      - .offset:         24
        .size:           8
        .value_kind:     by_value
      - .offset:         32
        .size:           8
        .value_kind:     by_value
      - .offset:         40
        .size:           12
        .value_kind:     by_value
      - .offset:         56
        .size:           8
        .value_kind:     by_value
      - .offset:         64
        .size:           8
        .value_kind:     by_value
      - .offset:         72
        .size:           8
        .value_kind:     by_value
      - .offset:         80
        .size:           8
        .value_kind:     by_value
      - .offset:         88
        .size:           8
        .value_kind:     by_value
      - .offset:         96
        .size:           8
        .value_kind:     by_value
      - .offset:         104
        .size:           8
        .value_kind:     by_value
      - .offset:         112
        .size:           8
        .value_kind:     by_value
      - .offset:         120
        .size:           8
        .value_kind:     by_value
      - .offset:         128
        .size:           4
        .value_kind:     hidden_block_count_x
      - .offset:         132
        .size:           4
        .value_kind:     hidden_block_count_y
      - .offset:         136
        .size:           4
        .value_kind:     hidden_block_count_z
      - .offset:         140
        .size:           2
        .value_kind:     hidden_group_size_x
      - .offset:         142
        .size:           2
        .value_kind:     hidden_group_size_y
      - .offset:         144
        .size:           2
        .value_kind:     hidden_group_size_z
      - .offset:         146
        .size:           2
        .value_kind:     hidden_remainder_x
      - .offset:         148
        .size:           2
        .value_kind:     hidden_remainder_y
      - .offset:         150
        .size:           2
        .value_kind:     hidden_remainder_z
      - .offset:         168
        .size:           8
        .value_kind:     hidden_global_offset_x
      - .offset:         176
        .size:           8
        .value_kind:     hidden_global_offset_y
      - .offset:         184
        .size:           8
        .value_kind:     hidden_global_offset_z
      - .offset:         192
        .size:           2
        .value_kind:     hidden_grid_dims
    .group_segment_fixed_size: 0
    .kernarg_segment_align: 8
    .kernarg_segment_size: 384
    .language:       OpenCL C
    .language_version:
      - 2
      - 0
    .max_flat_workgroup_size: 1024
    .name:           _ZL16k_get_rows_floatI6__halffEvPKT_PKiPT0_ll15HIP_vector_typeIjLj3EEmmmmmmmmm
    .private_segment_fixed_size: 0
    .sgpr_count:     48
    .sgpr_spill_count: 0
    .symbol:         _ZL16k_get_rows_floatI6__halffEvPKT_PKiPT0_ll15HIP_vector_typeIjLj3EEmmmmmmmmm.kd
    .uniform_work_group_size: 1
    .uses_dynamic_stack: false
    .vgpr_count:     13
    .vgpr_spill_count: 0
    .wavefront_size: 32
    .workgroup_processor_mode: 1
  - .args:
      - .address_space:  global
        .offset:         0
        .size:           8
        .value_kind:     global_buffer
      - .address_space:  global
        .offset:         8
        .size:           8
        .value_kind:     global_buffer
      - .address_space:  global
        .offset:         16
        .size:           8
        .value_kind:     global_buffer
      - .offset:         24
        .size:           8
        .value_kind:     by_value
      - .offset:         32
        .size:           8
        .value_kind:     by_value
      - .offset:         40
        .size:           12
        .value_kind:     by_value
      - .offset:         56
        .size:           8
        .value_kind:     by_value
      - .offset:         64
        .size:           8
        .value_kind:     by_value
      - .offset:         72
        .size:           8
        .value_kind:     by_value
      - .offset:         80
        .size:           8
        .value_kind:     by_value
      - .offset:         88
        .size:           8
        .value_kind:     by_value
      - .offset:         96
        .size:           8
        .value_kind:     by_value
      - .offset:         104
        .size:           8
        .value_kind:     by_value
      - .offset:         112
        .size:           8
        .value_kind:     by_value
      - .offset:         120
        .size:           8
        .value_kind:     by_value
      - .offset:         128
        .size:           4
        .value_kind:     hidden_block_count_x
      - .offset:         132
        .size:           4
        .value_kind:     hidden_block_count_y
      - .offset:         136
        .size:           4
        .value_kind:     hidden_block_count_z
      - .offset:         140
        .size:           2
        .value_kind:     hidden_group_size_x
      - .offset:         142
        .size:           2
        .value_kind:     hidden_group_size_y
      - .offset:         144
        .size:           2
        .value_kind:     hidden_group_size_z
      - .offset:         146
        .size:           2
        .value_kind:     hidden_remainder_x
      - .offset:         148
        .size:           2
        .value_kind:     hidden_remainder_y
      - .offset:         150
        .size:           2
        .value_kind:     hidden_remainder_z
      - .offset:         168
        .size:           8
        .value_kind:     hidden_global_offset_x
      - .offset:         176
        .size:           8
        .value_kind:     hidden_global_offset_y
      - .offset:         184
        .size:           8
        .value_kind:     hidden_global_offset_z
      - .offset:         192
        .size:           2
        .value_kind:     hidden_grid_dims
    .group_segment_fixed_size: 0
    .kernarg_segment_align: 8
    .kernarg_segment_size: 384
    .language:       OpenCL C
    .language_version:
      - 2
      - 0
    .max_flat_workgroup_size: 1024
    .name:           _ZL16k_get_rows_floatIffEvPKT_PKiPT0_ll15HIP_vector_typeIjLj3EEmmmmmmmmm
    .private_segment_fixed_size: 0
    .sgpr_count:     48
    .sgpr_spill_count: 0
    .symbol:         _ZL16k_get_rows_floatIffEvPKT_PKiPT0_ll15HIP_vector_typeIjLj3EEmmmmmmmmm.kd
    .uniform_work_group_size: 1
    .uses_dynamic_stack: false
    .vgpr_count:     15
    .vgpr_spill_count: 0
    .wavefront_size: 32
    .workgroup_processor_mode: 1
  - .args:
      - .address_space:  global
        .offset:         0
        .size:           8
        .value_kind:     global_buffer
      - .address_space:  global
        .offset:         8
        .size:           8
        .value_kind:     global_buffer
      - .address_space:  global
        .offset:         16
        .size:           8
        .value_kind:     global_buffer
      - .offset:         24
        .size:           8
        .value_kind:     by_value
      - .offset:         32
        .size:           8
        .value_kind:     by_value
      - .offset:         40
        .size:           12
        .value_kind:     by_value
      - .offset:         56
        .size:           8
        .value_kind:     by_value
      - .offset:         64
        .size:           8
        .value_kind:     by_value
      - .offset:         72
        .size:           8
        .value_kind:     by_value
      - .offset:         80
        .size:           8
        .value_kind:     by_value
      - .offset:         88
        .size:           8
        .value_kind:     by_value
      - .offset:         96
        .size:           8
        .value_kind:     by_value
      - .offset:         104
        .size:           8
        .value_kind:     by_value
      - .offset:         112
        .size:           8
        .value_kind:     by_value
      - .offset:         120
        .size:           8
        .value_kind:     by_value
      - .offset:         128
        .size:           4
        .value_kind:     hidden_block_count_x
      - .offset:         132
        .size:           4
        .value_kind:     hidden_block_count_y
      - .offset:         136
        .size:           4
        .value_kind:     hidden_block_count_z
      - .offset:         140
        .size:           2
        .value_kind:     hidden_group_size_x
      - .offset:         142
        .size:           2
        .value_kind:     hidden_group_size_y
      - .offset:         144
        .size:           2
        .value_kind:     hidden_group_size_z
      - .offset:         146
        .size:           2
        .value_kind:     hidden_remainder_x
      - .offset:         148
        .size:           2
        .value_kind:     hidden_remainder_y
      - .offset:         150
        .size:           2
        .value_kind:     hidden_remainder_z
      - .offset:         168
        .size:           8
        .value_kind:     hidden_global_offset_x
      - .offset:         176
        .size:           8
        .value_kind:     hidden_global_offset_y
      - .offset:         184
        .size:           8
        .value_kind:     hidden_global_offset_z
      - .offset:         192
        .size:           2
        .value_kind:     hidden_grid_dims
    .group_segment_fixed_size: 0
    .kernarg_segment_align: 8
    .kernarg_segment_size: 384
    .language:       OpenCL C
    .language_version:
      - 2
      - 0
    .max_flat_workgroup_size: 1024
    .name:           _ZL16k_get_rows_floatIifEvPKT_PKiPT0_ll15HIP_vector_typeIjLj3EEmmmmmmmmm
    .private_segment_fixed_size: 0
    .sgpr_count:     48
    .sgpr_spill_count: 0
    .symbol:         _ZL16k_get_rows_floatIifEvPKT_PKiPT0_ll15HIP_vector_typeIjLj3EEmmmmmmmmm.kd
    .uniform_work_group_size: 1
    .uses_dynamic_stack: false
    .vgpr_count:     15
    .vgpr_spill_count: 0
    .wavefront_size: 32
    .workgroup_processor_mode: 1
  - .args:
      - .address_space:  global
        .offset:         0
        .size:           8
        .value_kind:     global_buffer
      - .address_space:  global
        .offset:         8
        .size:           8
        .value_kind:     global_buffer
      - .address_space:  global
        .offset:         16
        .size:           8
        .value_kind:     global_buffer
      - .offset:         24
        .size:           8
        .value_kind:     by_value
      - .offset:         32
        .size:           8
        .value_kind:     by_value
      - .offset:         40
        .size:           12
        .value_kind:     by_value
      - .offset:         56
        .size:           8
        .value_kind:     by_value
      - .offset:         64
        .size:           8
        .value_kind:     by_value
      - .offset:         72
        .size:           8
        .value_kind:     by_value
      - .offset:         80
        .size:           8
        .value_kind:     by_value
      - .offset:         88
        .size:           8
        .value_kind:     by_value
      - .offset:         96
        .size:           8
        .value_kind:     by_value
      - .offset:         104
        .size:           8
        .value_kind:     by_value
      - .offset:         112
        .size:           8
        .value_kind:     by_value
      - .offset:         120
        .size:           8
        .value_kind:     by_value
      - .offset:         128
        .size:           4
        .value_kind:     hidden_block_count_x
      - .offset:         132
        .size:           4
        .value_kind:     hidden_block_count_y
      - .offset:         136
        .size:           4
        .value_kind:     hidden_block_count_z
      - .offset:         140
        .size:           2
        .value_kind:     hidden_group_size_x
      - .offset:         142
        .size:           2
        .value_kind:     hidden_group_size_y
      - .offset:         144
        .size:           2
        .value_kind:     hidden_group_size_z
      - .offset:         146
        .size:           2
        .value_kind:     hidden_remainder_x
      - .offset:         148
        .size:           2
        .value_kind:     hidden_remainder_y
      - .offset:         150
        .size:           2
        .value_kind:     hidden_remainder_z
      - .offset:         168
        .size:           8
        .value_kind:     hidden_global_offset_x
      - .offset:         176
        .size:           8
        .value_kind:     hidden_global_offset_y
      - .offset:         184
        .size:           8
        .value_kind:     hidden_global_offset_z
      - .offset:         192
        .size:           2
        .value_kind:     hidden_grid_dims
    .group_segment_fixed_size: 0
    .kernarg_segment_align: 8
    .kernarg_segment_size: 384
    .language:       OpenCL C
    .language_version:
      - 2
      - 0
    .max_flat_workgroup_size: 1024
    .name:           _ZL16k_get_rows_floatI14__hip_bfloat16fEvPKT_PKiPT0_ll15HIP_vector_typeIjLj3EEmmmmmmmmm
    .private_segment_fixed_size: 0
    .sgpr_count:     48
    .sgpr_spill_count: 0
    .symbol:         _ZL16k_get_rows_floatI14__hip_bfloat16fEvPKT_PKiPT0_ll15HIP_vector_typeIjLj3EEmmmmmmmmm.kd
    .uniform_work_group_size: 1
    .uses_dynamic_stack: false
    .vgpr_count:     13
    .vgpr_spill_count: 0
    .wavefront_size: 32
    .workgroup_processor_mode: 1
  - .args:
      - .actual_access:  read_only
        .address_space:  global
        .offset:         0
        .size:           8
        .value_kind:     global_buffer
      - .actual_access:  read_only
        .address_space:  global
        .offset:         8
        .size:           8
        .value_kind:     global_buffer
      - .actual_access:  write_only
        .address_space:  global
        .offset:         16
        .size:           8
        .value_kind:     global_buffer
      - .offset:         24
        .size:           8
        .value_kind:     by_value
      - .offset:         32
        .size:           8
        .value_kind:     by_value
      - .offset:         40
        .size:           12
        .value_kind:     by_value
      - .offset:         56
        .size:           8
        .value_kind:     by_value
      - .offset:         64
        .size:           8
        .value_kind:     by_value
      - .offset:         72
        .size:           8
        .value_kind:     by_value
      - .offset:         80
        .size:           8
        .value_kind:     by_value
      - .offset:         88
        .size:           8
        .value_kind:     by_value
      - .offset:         96
        .size:           8
        .value_kind:     by_value
      - .offset:         104
        .size:           8
        .value_kind:     by_value
      - .offset:         112
        .size:           8
        .value_kind:     by_value
      - .offset:         120
        .size:           8
        .value_kind:     by_value
      - .offset:         128
        .size:           4
        .value_kind:     hidden_block_count_x
      - .offset:         132
        .size:           4
        .value_kind:     hidden_block_count_y
      - .offset:         136
        .size:           4
        .value_kind:     hidden_block_count_z
      - .offset:         140
        .size:           2
        .value_kind:     hidden_group_size_x
      - .offset:         142
        .size:           2
        .value_kind:     hidden_group_size_y
      - .offset:         144
        .size:           2
        .value_kind:     hidden_group_size_z
      - .offset:         146
        .size:           2
        .value_kind:     hidden_remainder_x
      - .offset:         148
        .size:           2
        .value_kind:     hidden_remainder_y
      - .offset:         150
        .size:           2
        .value_kind:     hidden_remainder_z
      - .offset:         168
        .size:           8
        .value_kind:     hidden_global_offset_x
      - .offset:         176
        .size:           8
        .value_kind:     hidden_global_offset_y
      - .offset:         184
        .size:           8
        .value_kind:     hidden_global_offset_z
      - .offset:         192
        .size:           2
        .value_kind:     hidden_grid_dims
    .group_segment_fixed_size: 0
    .kernarg_segment_align: 8
    .kernarg_segment_size: 384
    .language:       OpenCL C
    .language_version:
      - 2
      - 0
    .max_flat_workgroup_size: 1024
    .name:           _ZL10k_get_rowsILi128ELi1EXadL_ZL15dequantize_q1_0PKvliR15HIP_vector_typeIfLj2EEEEfEvS1_PKiPT2_llS2_IjLj3EEmmmmmmmmm
    .private_segment_fixed_size: 0
    .sgpr_count:     57
    .sgpr_spill_count: 0
    .symbol:         _ZL10k_get_rowsILi128ELi1EXadL_ZL15dequantize_q1_0PKvliR15HIP_vector_typeIfLj2EEEEfEvS1_PKiPT2_llS2_IjLj3EEmmmmmmmmm.kd
    .uniform_work_group_size: 1
    .uses_dynamic_stack: false
    .vgpr_count:     20
    .vgpr_spill_count: 0
    .wavefront_size: 32
    .workgroup_processor_mode: 1
  - .args:
      - .actual_access:  read_only
        .address_space:  global
        .offset:         0
        .size:           8
        .value_kind:     global_buffer
      - .actual_access:  read_only
        .address_space:  global
        .offset:         8
        .size:           8
        .value_kind:     global_buffer
      - .actual_access:  write_only
        .address_space:  global
        .offset:         16
        .size:           8
        .value_kind:     global_buffer
      - .offset:         24
        .size:           8
        .value_kind:     by_value
      - .offset:         32
        .size:           8
        .value_kind:     by_value
      - .offset:         40
        .size:           12
        .value_kind:     by_value
      - .offset:         56
        .size:           8
        .value_kind:     by_value
      - .offset:         64
        .size:           8
        .value_kind:     by_value
      - .offset:         72
        .size:           8
        .value_kind:     by_value
      - .offset:         80
        .size:           8
        .value_kind:     by_value
      - .offset:         88
        .size:           8
        .value_kind:     by_value
      - .offset:         96
        .size:           8
        .value_kind:     by_value
      - .offset:         104
        .size:           8
        .value_kind:     by_value
      - .offset:         112
        .size:           8
        .value_kind:     by_value
      - .offset:         120
        .size:           8
        .value_kind:     by_value
      - .offset:         128
        .size:           4
        .value_kind:     hidden_block_count_x
      - .offset:         132
        .size:           4
        .value_kind:     hidden_block_count_y
      - .offset:         136
        .size:           4
        .value_kind:     hidden_block_count_z
      - .offset:         140
        .size:           2
        .value_kind:     hidden_group_size_x
      - .offset:         142
        .size:           2
        .value_kind:     hidden_group_size_y
      - .offset:         144
        .size:           2
        .value_kind:     hidden_group_size_z
      - .offset:         146
        .size:           2
        .value_kind:     hidden_remainder_x
      - .offset:         148
        .size:           2
        .value_kind:     hidden_remainder_y
      - .offset:         150
        .size:           2
        .value_kind:     hidden_remainder_z
      - .offset:         168
        .size:           8
        .value_kind:     hidden_global_offset_x
      - .offset:         176
        .size:           8
        .value_kind:     hidden_global_offset_y
      - .offset:         184
        .size:           8
        .value_kind:     hidden_global_offset_z
      - .offset:         192
        .size:           2
        .value_kind:     hidden_grid_dims
    .group_segment_fixed_size: 0
    .kernarg_segment_align: 8
    .kernarg_segment_size: 384
    .language:       OpenCL C
    .language_version:
      - 2
      - 0
    .max_flat_workgroup_size: 1024
    .name:           _ZL10k_get_rowsILi32ELi2EXadL_ZL15dequantize_q4_0PKvliR15HIP_vector_typeIfLj2EEEEfEvS1_PKiPT2_llS2_IjLj3EEmmmmmmmmm
    .private_segment_fixed_size: 0
    .sgpr_count:     57
    .sgpr_spill_count: 0
    .symbol:         _ZL10k_get_rowsILi32ELi2EXadL_ZL15dequantize_q4_0PKvliR15HIP_vector_typeIfLj2EEEEfEvS1_PKiPT2_llS2_IjLj3EEmmmmmmmmm.kd
    .uniform_work_group_size: 1
    .uses_dynamic_stack: false
    .vgpr_count:     14
    .vgpr_spill_count: 0
    .wavefront_size: 32
    .workgroup_processor_mode: 1
  - .args:
      - .actual_access:  read_only
        .address_space:  global
        .offset:         0
        .size:           8
        .value_kind:     global_buffer
      - .actual_access:  read_only
        .address_space:  global
        .offset:         8
        .size:           8
        .value_kind:     global_buffer
      - .actual_access:  write_only
        .address_space:  global
        .offset:         16
        .size:           8
        .value_kind:     global_buffer
      - .offset:         24
        .size:           8
        .value_kind:     by_value
      - .offset:         32
        .size:           8
        .value_kind:     by_value
      - .offset:         40
        .size:           12
        .value_kind:     by_value
      - .offset:         56
        .size:           8
        .value_kind:     by_value
      - .offset:         64
        .size:           8
        .value_kind:     by_value
      - .offset:         72
        .size:           8
        .value_kind:     by_value
      - .offset:         80
        .size:           8
        .value_kind:     by_value
      - .offset:         88
        .size:           8
        .value_kind:     by_value
      - .offset:         96
        .size:           8
        .value_kind:     by_value
      - .offset:         104
        .size:           8
        .value_kind:     by_value
      - .offset:         112
        .size:           8
        .value_kind:     by_value
      - .offset:         120
        .size:           8
        .value_kind:     by_value
      - .offset:         128
        .size:           4
        .value_kind:     hidden_block_count_x
      - .offset:         132
        .size:           4
        .value_kind:     hidden_block_count_y
      - .offset:         136
        .size:           4
        .value_kind:     hidden_block_count_z
      - .offset:         140
        .size:           2
        .value_kind:     hidden_group_size_x
      - .offset:         142
        .size:           2
        .value_kind:     hidden_group_size_y
      - .offset:         144
        .size:           2
        .value_kind:     hidden_group_size_z
      - .offset:         146
        .size:           2
        .value_kind:     hidden_remainder_x
      - .offset:         148
        .size:           2
        .value_kind:     hidden_remainder_y
      - .offset:         150
        .size:           2
        .value_kind:     hidden_remainder_z
      - .offset:         168
        .size:           8
        .value_kind:     hidden_global_offset_x
      - .offset:         176
        .size:           8
        .value_kind:     hidden_global_offset_y
      - .offset:         184
        .size:           8
        .value_kind:     hidden_global_offset_z
      - .offset:         192
        .size:           2
        .value_kind:     hidden_grid_dims
    .group_segment_fixed_size: 0
    .kernarg_segment_align: 8
    .kernarg_segment_size: 384
    .language:       OpenCL C
    .language_version:
      - 2
      - 0
    .max_flat_workgroup_size: 1024
    .name:           _ZL10k_get_rowsILi32ELi2EXadL_ZL15dequantize_q4_1PKvliR15HIP_vector_typeIfLj2EEEEfEvS1_PKiPT2_llS2_IjLj3EEmmmmmmmmm
    .private_segment_fixed_size: 0
    .sgpr_count:     57
    .sgpr_spill_count: 0
    .symbol:         _ZL10k_get_rowsILi32ELi2EXadL_ZL15dequantize_q4_1PKvliR15HIP_vector_typeIfLj2EEEEfEvS1_PKiPT2_llS2_IjLj3EEmmmmmmmmm.kd
    .uniform_work_group_size: 1
    .uses_dynamic_stack: false
    .vgpr_count:     14
    .vgpr_spill_count: 0
    .wavefront_size: 32
    .workgroup_processor_mode: 1
  - .args:
      - .actual_access:  read_only
        .address_space:  global
        .offset:         0
        .size:           8
        .value_kind:     global_buffer
      - .actual_access:  read_only
        .address_space:  global
        .offset:         8
        .size:           8
        .value_kind:     global_buffer
      - .actual_access:  write_only
        .address_space:  global
        .offset:         16
        .size:           8
        .value_kind:     global_buffer
      - .offset:         24
        .size:           8
        .value_kind:     by_value
      - .offset:         32
        .size:           8
        .value_kind:     by_value
      - .offset:         40
        .size:           12
        .value_kind:     by_value
      - .offset:         56
        .size:           8
        .value_kind:     by_value
      - .offset:         64
        .size:           8
        .value_kind:     by_value
      - .offset:         72
        .size:           8
        .value_kind:     by_value
      - .offset:         80
        .size:           8
        .value_kind:     by_value
      - .offset:         88
        .size:           8
        .value_kind:     by_value
      - .offset:         96
        .size:           8
        .value_kind:     by_value
      - .offset:         104
        .size:           8
        .value_kind:     by_value
      - .offset:         112
        .size:           8
        .value_kind:     by_value
      - .offset:         120
        .size:           8
        .value_kind:     by_value
      - .offset:         128
        .size:           4
        .value_kind:     hidden_block_count_x
      - .offset:         132
        .size:           4
        .value_kind:     hidden_block_count_y
      - .offset:         136
        .size:           4
        .value_kind:     hidden_block_count_z
      - .offset:         140
        .size:           2
        .value_kind:     hidden_group_size_x
      - .offset:         142
        .size:           2
        .value_kind:     hidden_group_size_y
      - .offset:         144
        .size:           2
        .value_kind:     hidden_group_size_z
      - .offset:         146
        .size:           2
        .value_kind:     hidden_remainder_x
      - .offset:         148
        .size:           2
        .value_kind:     hidden_remainder_y
      - .offset:         150
        .size:           2
        .value_kind:     hidden_remainder_z
      - .offset:         168
        .size:           8
        .value_kind:     hidden_global_offset_x
      - .offset:         176
        .size:           8
        .value_kind:     hidden_global_offset_y
      - .offset:         184
        .size:           8
        .value_kind:     hidden_global_offset_z
      - .offset:         192
        .size:           2
        .value_kind:     hidden_grid_dims
    .group_segment_fixed_size: 0
    .kernarg_segment_align: 8
    .kernarg_segment_size: 384
    .language:       OpenCL C
    .language_version:
      - 2
      - 0
    .max_flat_workgroup_size: 1024
    .name:           _ZL10k_get_rowsILi32ELi2EXadL_ZL15dequantize_q5_0PKvliR15HIP_vector_typeIfLj2EEEEfEvS1_PKiPT2_llS2_IjLj3EEmmmmmmmmm
    .private_segment_fixed_size: 0
    .sgpr_count:     57
    .sgpr_spill_count: 0
    .symbol:         _ZL10k_get_rowsILi32ELi2EXadL_ZL15dequantize_q5_0PKvliR15HIP_vector_typeIfLj2EEEEfEvS1_PKiPT2_llS2_IjLj3EEmmmmmmmmm.kd
    .uniform_work_group_size: 1
    .uses_dynamic_stack: false
    .vgpr_count:     16
    .vgpr_spill_count: 0
    .wavefront_size: 32
    .workgroup_processor_mode: 1
  - .args:
      - .actual_access:  read_only
        .address_space:  global
        .offset:         0
        .size:           8
        .value_kind:     global_buffer
      - .actual_access:  read_only
        .address_space:  global
        .offset:         8
        .size:           8
        .value_kind:     global_buffer
      - .actual_access:  write_only
        .address_space:  global
        .offset:         16
        .size:           8
        .value_kind:     global_buffer
      - .offset:         24
        .size:           8
        .value_kind:     by_value
      - .offset:         32
        .size:           8
        .value_kind:     by_value
      - .offset:         40
        .size:           12
        .value_kind:     by_value
      - .offset:         56
        .size:           8
        .value_kind:     by_value
      - .offset:         64
        .size:           8
        .value_kind:     by_value
      - .offset:         72
        .size:           8
        .value_kind:     by_value
      - .offset:         80
        .size:           8
        .value_kind:     by_value
      - .offset:         88
        .size:           8
        .value_kind:     by_value
      - .offset:         96
        .size:           8
        .value_kind:     by_value
      - .offset:         104
        .size:           8
        .value_kind:     by_value
      - .offset:         112
        .size:           8
        .value_kind:     by_value
      - .offset:         120
        .size:           8
        .value_kind:     by_value
      - .offset:         128
        .size:           4
        .value_kind:     hidden_block_count_x
      - .offset:         132
        .size:           4
        .value_kind:     hidden_block_count_y
      - .offset:         136
        .size:           4
        .value_kind:     hidden_block_count_z
      - .offset:         140
        .size:           2
        .value_kind:     hidden_group_size_x
      - .offset:         142
        .size:           2
        .value_kind:     hidden_group_size_y
      - .offset:         144
        .size:           2
        .value_kind:     hidden_group_size_z
      - .offset:         146
        .size:           2
        .value_kind:     hidden_remainder_x
      - .offset:         148
        .size:           2
        .value_kind:     hidden_remainder_y
      - .offset:         150
        .size:           2
        .value_kind:     hidden_remainder_z
      - .offset:         168
        .size:           8
        .value_kind:     hidden_global_offset_x
      - .offset:         176
        .size:           8
        .value_kind:     hidden_global_offset_y
      - .offset:         184
        .size:           8
        .value_kind:     hidden_global_offset_z
      - .offset:         192
        .size:           2
        .value_kind:     hidden_grid_dims
    .group_segment_fixed_size: 0
    .kernarg_segment_align: 8
    .kernarg_segment_size: 384
    .language:       OpenCL C
    .language_version:
      - 2
      - 0
    .max_flat_workgroup_size: 1024
    .name:           _ZL10k_get_rowsILi32ELi2EXadL_ZL15dequantize_q5_1PKvliR15HIP_vector_typeIfLj2EEEEfEvS1_PKiPT2_llS2_IjLj3EEmmmmmmmmm
    .private_segment_fixed_size: 0
    .sgpr_count:     57
    .sgpr_spill_count: 0
    .symbol:         _ZL10k_get_rowsILi32ELi2EXadL_ZL15dequantize_q5_1PKvliR15HIP_vector_typeIfLj2EEEEfEvS1_PKiPT2_llS2_IjLj3EEmmmmmmmmm.kd
    .uniform_work_group_size: 1
    .uses_dynamic_stack: false
    .vgpr_count:     16
    .vgpr_spill_count: 0
    .wavefront_size: 32
    .workgroup_processor_mode: 1
  - .args:
      - .actual_access:  read_only
        .address_space:  global
        .offset:         0
        .size:           8
        .value_kind:     global_buffer
      - .actual_access:  read_only
        .address_space:  global
        .offset:         8
        .size:           8
        .value_kind:     global_buffer
      - .actual_access:  write_only
        .address_space:  global
        .offset:         16
        .size:           8
        .value_kind:     global_buffer
      - .offset:         24
        .size:           8
        .value_kind:     by_value
      - .offset:         32
        .size:           8
        .value_kind:     by_value
      - .offset:         40
        .size:           12
        .value_kind:     by_value
      - .offset:         56
        .size:           8
        .value_kind:     by_value
      - .offset:         64
        .size:           8
        .value_kind:     by_value
      - .offset:         72
        .size:           8
        .value_kind:     by_value
      - .offset:         80
        .size:           8
        .value_kind:     by_value
      - .offset:         88
        .size:           8
        .value_kind:     by_value
      - .offset:         96
        .size:           8
        .value_kind:     by_value
      - .offset:         104
        .size:           8
        .value_kind:     by_value
      - .offset:         112
        .size:           8
        .value_kind:     by_value
      - .offset:         120
        .size:           8
        .value_kind:     by_value
      - .offset:         128
        .size:           4
        .value_kind:     hidden_block_count_x
      - .offset:         132
        .size:           4
        .value_kind:     hidden_block_count_y
      - .offset:         136
        .size:           4
        .value_kind:     hidden_block_count_z
      - .offset:         140
        .size:           2
        .value_kind:     hidden_group_size_x
      - .offset:         142
        .size:           2
        .value_kind:     hidden_group_size_y
      - .offset:         144
        .size:           2
        .value_kind:     hidden_group_size_z
      - .offset:         146
        .size:           2
        .value_kind:     hidden_remainder_x
      - .offset:         148
        .size:           2
        .value_kind:     hidden_remainder_y
      - .offset:         150
        .size:           2
        .value_kind:     hidden_remainder_z
      - .offset:         168
        .size:           8
        .value_kind:     hidden_global_offset_x
      - .offset:         176
        .size:           8
        .value_kind:     hidden_global_offset_y
      - .offset:         184
        .size:           8
        .value_kind:     hidden_global_offset_z
      - .offset:         192
        .size:           2
        .value_kind:     hidden_grid_dims
    .group_segment_fixed_size: 0
    .kernarg_segment_align: 8
    .kernarg_segment_size: 384
    .language:       OpenCL C
    .language_version:
      - 2
      - 0
    .max_flat_workgroup_size: 1024
    .name:           _ZL10k_get_rowsILi32ELi1EXadL_ZL15dequantize_q8_0PKvliR15HIP_vector_typeIfLj2EEEEfEvS1_PKiPT2_llS2_IjLj3EEmmmmmmmmm
    .private_segment_fixed_size: 0
    .sgpr_count:     57
    .sgpr_spill_count: 0
    .symbol:         _ZL10k_get_rowsILi32ELi1EXadL_ZL15dequantize_q8_0PKvliR15HIP_vector_typeIfLj2EEEEfEvS1_PKiPT2_llS2_IjLj3EEmmmmmmmmm.kd
    .uniform_work_group_size: 1
    .uses_dynamic_stack: false
    .vgpr_count:     18
    .vgpr_spill_count: 0
    .wavefront_size: 32
    .workgroup_processor_mode: 1
  - .args:
      - .address_space:  global
        .offset:         0
        .size:           8
        .value_kind:     global_buffer
      - .address_space:  global
        .offset:         8
        .size:           8
        .value_kind:     global_buffer
      - .address_space:  global
        .offset:         16
        .size:           8
        .value_kind:     global_buffer
      - .offset:         24
        .size:           8
        .value_kind:     by_value
      - .offset:         32
        .size:           8
        .value_kind:     by_value
      - .offset:         40
        .size:           12
        .value_kind:     by_value
      - .offset:         56
        .size:           8
        .value_kind:     by_value
      - .offset:         64
        .size:           8
        .value_kind:     by_value
      - .offset:         72
        .size:           8
        .value_kind:     by_value
      - .offset:         80
        .size:           8
        .value_kind:     by_value
      - .offset:         88
        .size:           8
        .value_kind:     by_value
      - .offset:         96
        .size:           8
        .value_kind:     by_value
      - .offset:         104
        .size:           8
        .value_kind:     by_value
      - .offset:         112
        .size:           8
        .value_kind:     by_value
      - .offset:         120
        .size:           8
        .value_kind:     by_value
      - .offset:         128
        .size:           4
        .value_kind:     hidden_block_count_x
      - .offset:         132
        .size:           4
        .value_kind:     hidden_block_count_y
      - .offset:         136
        .size:           4
        .value_kind:     hidden_block_count_z
      - .offset:         140
        .size:           2
        .value_kind:     hidden_group_size_x
      - .offset:         142
        .size:           2
        .value_kind:     hidden_group_size_y
      - .offset:         144
        .size:           2
        .value_kind:     hidden_group_size_z
      - .offset:         146
        .size:           2
        .value_kind:     hidden_remainder_x
      - .offset:         148
        .size:           2
        .value_kind:     hidden_remainder_y
      - .offset:         150
        .size:           2
        .value_kind:     hidden_remainder_z
      - .offset:         168
        .size:           8
        .value_kind:     hidden_global_offset_x
      - .offset:         176
        .size:           8
        .value_kind:     hidden_global_offset_y
      - .offset:         184
        .size:           8
        .value_kind:     hidden_global_offset_z
      - .offset:         192
        .size:           2
        .value_kind:     hidden_grid_dims
    .group_segment_fixed_size: 0
    .kernarg_segment_align: 8
    .kernarg_segment_size: 384
    .language:       OpenCL C
    .language_version:
      - 2
      - 0
    .max_flat_workgroup_size: 1024
    .name:           _ZL16k_get_rows_floatI6__halfiEvPKT_PKiPT0_ll15HIP_vector_typeIjLj3EEmmmmmmmmm
    .private_segment_fixed_size: 0
    .sgpr_count:     48
    .sgpr_spill_count: 0
    .symbol:         _ZL16k_get_rows_floatI6__halfiEvPKT_PKiPT0_ll15HIP_vector_typeIjLj3EEmmmmmmmmm.kd
    .uniform_work_group_size: 1
    .uses_dynamic_stack: false
    .vgpr_count:     17
    .vgpr_spill_count: 0
    .wavefront_size: 32
    .workgroup_processor_mode: 1
  - .args:
      - .address_space:  global
        .offset:         0
        .size:           8
        .value_kind:     global_buffer
      - .address_space:  global
        .offset:         8
        .size:           8
        .value_kind:     global_buffer
      - .address_space:  global
        .offset:         16
        .size:           8
        .value_kind:     global_buffer
      - .offset:         24
        .size:           8
        .value_kind:     by_value
      - .offset:         32
        .size:           8
        .value_kind:     by_value
      - .offset:         40
        .size:           12
        .value_kind:     by_value
      - .offset:         56
        .size:           8
        .value_kind:     by_value
      - .offset:         64
        .size:           8
        .value_kind:     by_value
      - .offset:         72
        .size:           8
        .value_kind:     by_value
      - .offset:         80
        .size:           8
        .value_kind:     by_value
      - .offset:         88
        .size:           8
        .value_kind:     by_value
      - .offset:         96
        .size:           8
        .value_kind:     by_value
      - .offset:         104
        .size:           8
        .value_kind:     by_value
      - .offset:         112
        .size:           8
        .value_kind:     by_value
      - .offset:         120
        .size:           8
        .value_kind:     by_value
      - .offset:         128
        .size:           4
        .value_kind:     hidden_block_count_x
      - .offset:         132
        .size:           4
        .value_kind:     hidden_block_count_y
      - .offset:         136
        .size:           4
        .value_kind:     hidden_block_count_z
      - .offset:         140
        .size:           2
        .value_kind:     hidden_group_size_x
      - .offset:         142
        .size:           2
        .value_kind:     hidden_group_size_y
      - .offset:         144
        .size:           2
        .value_kind:     hidden_group_size_z
      - .offset:         146
        .size:           2
        .value_kind:     hidden_remainder_x
      - .offset:         148
        .size:           2
        .value_kind:     hidden_remainder_y
      - .offset:         150
        .size:           2
        .value_kind:     hidden_remainder_z
      - .offset:         168
        .size:           8
        .value_kind:     hidden_global_offset_x
      - .offset:         176
        .size:           8
        .value_kind:     hidden_global_offset_y
      - .offset:         184
        .size:           8
        .value_kind:     hidden_global_offset_z
      - .offset:         192
        .size:           2
        .value_kind:     hidden_grid_dims
    .group_segment_fixed_size: 0
    .kernarg_segment_align: 8
    .kernarg_segment_size: 384
    .language:       OpenCL C
    .language_version:
      - 2
      - 0
    .max_flat_workgroup_size: 1024
    .name:           _ZL16k_get_rows_floatIfiEvPKT_PKiPT0_ll15HIP_vector_typeIjLj3EEmmmmmmmmm
    .private_segment_fixed_size: 0
    .sgpr_count:     48
    .sgpr_spill_count: 0
    .symbol:         _ZL16k_get_rows_floatIfiEvPKT_PKiPT0_ll15HIP_vector_typeIjLj3EEmmmmmmmmm.kd
    .uniform_work_group_size: 1
    .uses_dynamic_stack: false
    .vgpr_count:     16
    .vgpr_spill_count: 0
    .wavefront_size: 32
    .workgroup_processor_mode: 1
  - .args:
      - .address_space:  global
        .offset:         0
        .size:           8
        .value_kind:     global_buffer
      - .address_space:  global
        .offset:         8
        .size:           8
        .value_kind:     global_buffer
      - .address_space:  global
        .offset:         16
        .size:           8
        .value_kind:     global_buffer
      - .offset:         24
        .size:           8
        .value_kind:     by_value
      - .offset:         32
        .size:           8
        .value_kind:     by_value
      - .offset:         40
        .size:           12
        .value_kind:     by_value
      - .offset:         56
        .size:           8
        .value_kind:     by_value
      - .offset:         64
        .size:           8
        .value_kind:     by_value
      - .offset:         72
        .size:           8
        .value_kind:     by_value
      - .offset:         80
        .size:           8
        .value_kind:     by_value
      - .offset:         88
        .size:           8
        .value_kind:     by_value
      - .offset:         96
        .size:           8
        .value_kind:     by_value
      - .offset:         104
        .size:           8
        .value_kind:     by_value
      - .offset:         112
        .size:           8
        .value_kind:     by_value
      - .offset:         120
        .size:           8
        .value_kind:     by_value
      - .offset:         128
        .size:           4
        .value_kind:     hidden_block_count_x
      - .offset:         132
        .size:           4
        .value_kind:     hidden_block_count_y
      - .offset:         136
        .size:           4
        .value_kind:     hidden_block_count_z
      - .offset:         140
        .size:           2
        .value_kind:     hidden_group_size_x
      - .offset:         142
        .size:           2
        .value_kind:     hidden_group_size_y
      - .offset:         144
        .size:           2
        .value_kind:     hidden_group_size_z
      - .offset:         146
        .size:           2
        .value_kind:     hidden_remainder_x
      - .offset:         148
        .size:           2
        .value_kind:     hidden_remainder_y
      - .offset:         150
        .size:           2
        .value_kind:     hidden_remainder_z
      - .offset:         168
        .size:           8
        .value_kind:     hidden_global_offset_x
      - .offset:         176
        .size:           8
        .value_kind:     hidden_global_offset_y
      - .offset:         184
        .size:           8
        .value_kind:     hidden_global_offset_z
      - .offset:         192
        .size:           2
        .value_kind:     hidden_grid_dims
    .group_segment_fixed_size: 0
    .kernarg_segment_align: 8
    .kernarg_segment_size: 384
    .language:       OpenCL C
    .language_version:
      - 2
      - 0
    .max_flat_workgroup_size: 1024
    .name:           _ZL16k_get_rows_floatIiiEvPKT_PKiPT0_ll15HIP_vector_typeIjLj3EEmmmmmmmmm
    .private_segment_fixed_size: 0
    .sgpr_count:     48
    .sgpr_spill_count: 0
    .symbol:         _ZL16k_get_rows_floatIiiEvPKT_PKiPT0_ll15HIP_vector_typeIjLj3EEmmmmmmmmm.kd
    .uniform_work_group_size: 1
    .uses_dynamic_stack: false
    .vgpr_count:     16
    .vgpr_spill_count: 0
    .wavefront_size: 32
    .workgroup_processor_mode: 1
  - .args:
      - .address_space:  global
        .offset:         0
        .size:           8
        .value_kind:     global_buffer
      - .address_space:  global
        .offset:         8
        .size:           8
        .value_kind:     global_buffer
      - .address_space:  global
        .offset:         16
        .size:           8
        .value_kind:     global_buffer
      - .offset:         24
        .size:           8
        .value_kind:     by_value
      - .offset:         32
        .size:           8
        .value_kind:     by_value
      - .offset:         40
        .size:           12
        .value_kind:     by_value
      - .offset:         56
        .size:           8
        .value_kind:     by_value
      - .offset:         64
        .size:           8
        .value_kind:     by_value
      - .offset:         72
        .size:           8
        .value_kind:     by_value
      - .offset:         80
        .size:           8
        .value_kind:     by_value
      - .offset:         88
        .size:           8
        .value_kind:     by_value
      - .offset:         96
        .size:           8
        .value_kind:     by_value
      - .offset:         104
        .size:           8
        .value_kind:     by_value
      - .offset:         112
        .size:           8
        .value_kind:     by_value
      - .offset:         120
        .size:           8
        .value_kind:     by_value
      - .offset:         128
        .size:           4
        .value_kind:     hidden_block_count_x
      - .offset:         132
        .size:           4
        .value_kind:     hidden_block_count_y
      - .offset:         136
        .size:           4
        .value_kind:     hidden_block_count_z
      - .offset:         140
        .size:           2
        .value_kind:     hidden_group_size_x
      - .offset:         142
        .size:           2
        .value_kind:     hidden_group_size_y
      - .offset:         144
        .size:           2
        .value_kind:     hidden_group_size_z
      - .offset:         146
        .size:           2
        .value_kind:     hidden_remainder_x
      - .offset:         148
        .size:           2
        .value_kind:     hidden_remainder_y
      - .offset:         150
        .size:           2
        .value_kind:     hidden_remainder_z
      - .offset:         168
        .size:           8
        .value_kind:     hidden_global_offset_x
      - .offset:         176
        .size:           8
        .value_kind:     hidden_global_offset_y
      - .offset:         184
        .size:           8
        .value_kind:     hidden_global_offset_z
      - .offset:         192
        .size:           2
        .value_kind:     hidden_grid_dims
    .group_segment_fixed_size: 0
    .kernarg_segment_align: 8
    .kernarg_segment_size: 384
    .language:       OpenCL C
    .language_version:
      - 2
      - 0
    .max_flat_workgroup_size: 1024
    .name:           _ZL16k_get_rows_floatI14__hip_bfloat16iEvPKT_PKiPT0_ll15HIP_vector_typeIjLj3EEmmmmmmmmm
    .private_segment_fixed_size: 0
    .sgpr_count:     48
    .sgpr_spill_count: 0
    .symbol:         _ZL16k_get_rows_floatI14__hip_bfloat16iEvPKT_PKiPT0_ll15HIP_vector_typeIjLj3EEmmmmmmmmm.kd
    .uniform_work_group_size: 1
    .uses_dynamic_stack: false
    .vgpr_count:     17
    .vgpr_spill_count: 0
    .wavefront_size: 32
    .workgroup_processor_mode: 1
  - .args:
      - .actual_access:  read_only
        .address_space:  global
        .offset:         0
        .size:           8
        .value_kind:     global_buffer
      - .actual_access:  read_only
        .address_space:  global
        .offset:         8
        .size:           8
        .value_kind:     global_buffer
      - .actual_access:  write_only
        .address_space:  global
        .offset:         16
        .size:           8
        .value_kind:     global_buffer
      - .offset:         24
        .size:           8
        .value_kind:     by_value
      - .offset:         32
        .size:           8
        .value_kind:     by_value
      - .offset:         40
        .size:           12
        .value_kind:     by_value
      - .offset:         56
        .size:           8
        .value_kind:     by_value
      - .offset:         64
        .size:           8
        .value_kind:     by_value
      - .offset:         72
        .size:           8
        .value_kind:     by_value
      - .offset:         80
        .size:           8
        .value_kind:     by_value
      - .offset:         88
        .size:           8
        .value_kind:     by_value
      - .offset:         96
        .size:           8
        .value_kind:     by_value
      - .offset:         104
        .size:           8
        .value_kind:     by_value
      - .offset:         112
        .size:           8
        .value_kind:     by_value
      - .offset:         120
        .size:           8
        .value_kind:     by_value
      - .offset:         128
        .size:           4
        .value_kind:     hidden_block_count_x
      - .offset:         132
        .size:           4
        .value_kind:     hidden_block_count_y
      - .offset:         136
        .size:           4
        .value_kind:     hidden_block_count_z
      - .offset:         140
        .size:           2
        .value_kind:     hidden_group_size_x
      - .offset:         142
        .size:           2
        .value_kind:     hidden_group_size_y
      - .offset:         144
        .size:           2
        .value_kind:     hidden_group_size_z
      - .offset:         146
        .size:           2
        .value_kind:     hidden_remainder_x
      - .offset:         148
        .size:           2
        .value_kind:     hidden_remainder_y
      - .offset:         150
        .size:           2
        .value_kind:     hidden_remainder_z
      - .offset:         168
        .size:           8
        .value_kind:     hidden_global_offset_x
      - .offset:         176
        .size:           8
        .value_kind:     hidden_global_offset_y
      - .offset:         184
        .size:           8
        .value_kind:     hidden_global_offset_z
      - .offset:         192
        .size:           2
        .value_kind:     hidden_grid_dims
    .group_segment_fixed_size: 0
    .kernarg_segment_align: 8
    .kernarg_segment_size: 384
    .language:       OpenCL C
    .language_version:
      - 2
      - 0
    .max_flat_workgroup_size: 1024
    .name:           _ZL10k_get_rowsILi128ELi1EXadL_ZL15dequantize_q1_0PKvliR15HIP_vector_typeIfLj2EEEEiEvS1_PKiPT2_llS2_IjLj3EEmmmmmmmmm
    .private_segment_fixed_size: 0
    .sgpr_count:     57
    .sgpr_spill_count: 0
    .symbol:         _ZL10k_get_rowsILi128ELi1EXadL_ZL15dequantize_q1_0PKvliR15HIP_vector_typeIfLj2EEEEiEvS1_PKiPT2_llS2_IjLj3EEmmmmmmmmm.kd
    .uniform_work_group_size: 1
    .uses_dynamic_stack: false
    .vgpr_count:     20
    .vgpr_spill_count: 0
    .wavefront_size: 32
    .workgroup_processor_mode: 1
  - .args:
      - .actual_access:  read_only
        .address_space:  global
        .offset:         0
        .size:           8
        .value_kind:     global_buffer
      - .actual_access:  read_only
        .address_space:  global
        .offset:         8
        .size:           8
        .value_kind:     global_buffer
      - .actual_access:  write_only
        .address_space:  global
        .offset:         16
        .size:           8
        .value_kind:     global_buffer
      - .offset:         24
        .size:           8
        .value_kind:     by_value
      - .offset:         32
        .size:           8
        .value_kind:     by_value
      - .offset:         40
        .size:           12
        .value_kind:     by_value
      - .offset:         56
        .size:           8
        .value_kind:     by_value
      - .offset:         64
        .size:           8
        .value_kind:     by_value
      - .offset:         72
        .size:           8
        .value_kind:     by_value
      - .offset:         80
        .size:           8
        .value_kind:     by_value
      - .offset:         88
        .size:           8
        .value_kind:     by_value
      - .offset:         96
        .size:           8
        .value_kind:     by_value
      - .offset:         104
        .size:           8
        .value_kind:     by_value
      - .offset:         112
        .size:           8
        .value_kind:     by_value
      - .offset:         120
        .size:           8
        .value_kind:     by_value
      - .offset:         128
        .size:           4
        .value_kind:     hidden_block_count_x
      - .offset:         132
        .size:           4
        .value_kind:     hidden_block_count_y
      - .offset:         136
        .size:           4
        .value_kind:     hidden_block_count_z
      - .offset:         140
        .size:           2
        .value_kind:     hidden_group_size_x
      - .offset:         142
        .size:           2
        .value_kind:     hidden_group_size_y
      - .offset:         144
        .size:           2
        .value_kind:     hidden_group_size_z
      - .offset:         146
        .size:           2
        .value_kind:     hidden_remainder_x
      - .offset:         148
        .size:           2
        .value_kind:     hidden_remainder_y
      - .offset:         150
        .size:           2
        .value_kind:     hidden_remainder_z
      - .offset:         168
        .size:           8
        .value_kind:     hidden_global_offset_x
      - .offset:         176
        .size:           8
        .value_kind:     hidden_global_offset_y
      - .offset:         184
        .size:           8
        .value_kind:     hidden_global_offset_z
      - .offset:         192
        .size:           2
        .value_kind:     hidden_grid_dims
    .group_segment_fixed_size: 0
    .kernarg_segment_align: 8
    .kernarg_segment_size: 384
    .language:       OpenCL C
    .language_version:
      - 2
      - 0
    .max_flat_workgroup_size: 1024
    .name:           _ZL10k_get_rowsILi32ELi2EXadL_ZL15dequantize_q4_0PKvliR15HIP_vector_typeIfLj2EEEEiEvS1_PKiPT2_llS2_IjLj3EEmmmmmmmmm
    .private_segment_fixed_size: 0
    .sgpr_count:     57
    .sgpr_spill_count: 0
    .symbol:         _ZL10k_get_rowsILi32ELi2EXadL_ZL15dequantize_q4_0PKvliR15HIP_vector_typeIfLj2EEEEiEvS1_PKiPT2_llS2_IjLj3EEmmmmmmmmm.kd
    .uniform_work_group_size: 1
    .uses_dynamic_stack: false
    .vgpr_count:     14
    .vgpr_spill_count: 0
    .wavefront_size: 32
    .workgroup_processor_mode: 1
  - .args:
      - .actual_access:  read_only
        .address_space:  global
        .offset:         0
        .size:           8
        .value_kind:     global_buffer
      - .actual_access:  read_only
        .address_space:  global
        .offset:         8
        .size:           8
        .value_kind:     global_buffer
      - .actual_access:  write_only
        .address_space:  global
        .offset:         16
        .size:           8
        .value_kind:     global_buffer
      - .offset:         24
        .size:           8
        .value_kind:     by_value
      - .offset:         32
        .size:           8
        .value_kind:     by_value
      - .offset:         40
        .size:           12
        .value_kind:     by_value
      - .offset:         56
        .size:           8
        .value_kind:     by_value
      - .offset:         64
        .size:           8
        .value_kind:     by_value
      - .offset:         72
        .size:           8
        .value_kind:     by_value
      - .offset:         80
        .size:           8
        .value_kind:     by_value
      - .offset:         88
        .size:           8
        .value_kind:     by_value
      - .offset:         96
        .size:           8
        .value_kind:     by_value
      - .offset:         104
        .size:           8
        .value_kind:     by_value
      - .offset:         112
        .size:           8
        .value_kind:     by_value
      - .offset:         120
        .size:           8
        .value_kind:     by_value
      - .offset:         128
        .size:           4
        .value_kind:     hidden_block_count_x
      - .offset:         132
        .size:           4
        .value_kind:     hidden_block_count_y
      - .offset:         136
        .size:           4
        .value_kind:     hidden_block_count_z
      - .offset:         140
        .size:           2
        .value_kind:     hidden_group_size_x
      - .offset:         142
        .size:           2
        .value_kind:     hidden_group_size_y
      - .offset:         144
        .size:           2
        .value_kind:     hidden_group_size_z
      - .offset:         146
        .size:           2
        .value_kind:     hidden_remainder_x
      - .offset:         148
        .size:           2
        .value_kind:     hidden_remainder_y
      - .offset:         150
        .size:           2
        .value_kind:     hidden_remainder_z
      - .offset:         168
        .size:           8
        .value_kind:     hidden_global_offset_x
      - .offset:         176
        .size:           8
        .value_kind:     hidden_global_offset_y
      - .offset:         184
        .size:           8
        .value_kind:     hidden_global_offset_z
      - .offset:         192
        .size:           2
        .value_kind:     hidden_grid_dims
    .group_segment_fixed_size: 0
    .kernarg_segment_align: 8
    .kernarg_segment_size: 384
    .language:       OpenCL C
    .language_version:
      - 2
      - 0
    .max_flat_workgroup_size: 1024
    .name:           _ZL10k_get_rowsILi32ELi2EXadL_ZL15dequantize_q4_1PKvliR15HIP_vector_typeIfLj2EEEEiEvS1_PKiPT2_llS2_IjLj3EEmmmmmmmmm
    .private_segment_fixed_size: 0
    .sgpr_count:     57
    .sgpr_spill_count: 0
    .symbol:         _ZL10k_get_rowsILi32ELi2EXadL_ZL15dequantize_q4_1PKvliR15HIP_vector_typeIfLj2EEEEiEvS1_PKiPT2_llS2_IjLj3EEmmmmmmmmm.kd
    .uniform_work_group_size: 1
    .uses_dynamic_stack: false
    .vgpr_count:     14
    .vgpr_spill_count: 0
    .wavefront_size: 32
    .workgroup_processor_mode: 1
  - .args:
      - .actual_access:  read_only
        .address_space:  global
        .offset:         0
        .size:           8
        .value_kind:     global_buffer
      - .actual_access:  read_only
        .address_space:  global
        .offset:         8
        .size:           8
        .value_kind:     global_buffer
      - .actual_access:  write_only
        .address_space:  global
        .offset:         16
        .size:           8
        .value_kind:     global_buffer
      - .offset:         24
        .size:           8
        .value_kind:     by_value
      - .offset:         32
        .size:           8
        .value_kind:     by_value
      - .offset:         40
        .size:           12
        .value_kind:     by_value
      - .offset:         56
        .size:           8
        .value_kind:     by_value
      - .offset:         64
        .size:           8
        .value_kind:     by_value
      - .offset:         72
        .size:           8
        .value_kind:     by_value
      - .offset:         80
        .size:           8
        .value_kind:     by_value
      - .offset:         88
        .size:           8
        .value_kind:     by_value
      - .offset:         96
        .size:           8
        .value_kind:     by_value
      - .offset:         104
        .size:           8
        .value_kind:     by_value
      - .offset:         112
        .size:           8
        .value_kind:     by_value
      - .offset:         120
        .size:           8
        .value_kind:     by_value
      - .offset:         128
        .size:           4
        .value_kind:     hidden_block_count_x
      - .offset:         132
        .size:           4
        .value_kind:     hidden_block_count_y
      - .offset:         136
        .size:           4
        .value_kind:     hidden_block_count_z
      - .offset:         140
        .size:           2
        .value_kind:     hidden_group_size_x
      - .offset:         142
        .size:           2
        .value_kind:     hidden_group_size_y
      - .offset:         144
        .size:           2
        .value_kind:     hidden_group_size_z
      - .offset:         146
        .size:           2
        .value_kind:     hidden_remainder_x
      - .offset:         148
        .size:           2
        .value_kind:     hidden_remainder_y
      - .offset:         150
        .size:           2
        .value_kind:     hidden_remainder_z
      - .offset:         168
        .size:           8
        .value_kind:     hidden_global_offset_x
      - .offset:         176
        .size:           8
        .value_kind:     hidden_global_offset_y
      - .offset:         184
        .size:           8
        .value_kind:     hidden_global_offset_z
      - .offset:         192
        .size:           2
        .value_kind:     hidden_grid_dims
    .group_segment_fixed_size: 0
    .kernarg_segment_align: 8
    .kernarg_segment_size: 384
    .language:       OpenCL C
    .language_version:
      - 2
      - 0
    .max_flat_workgroup_size: 1024
    .name:           _ZL10k_get_rowsILi32ELi2EXadL_ZL15dequantize_q5_0PKvliR15HIP_vector_typeIfLj2EEEEiEvS1_PKiPT2_llS2_IjLj3EEmmmmmmmmm
    .private_segment_fixed_size: 0
    .sgpr_count:     57
    .sgpr_spill_count: 0
    .symbol:         _ZL10k_get_rowsILi32ELi2EXadL_ZL15dequantize_q5_0PKvliR15HIP_vector_typeIfLj2EEEEiEvS1_PKiPT2_llS2_IjLj3EEmmmmmmmmm.kd
    .uniform_work_group_size: 1
    .uses_dynamic_stack: false
    .vgpr_count:     15
    .vgpr_spill_count: 0
    .wavefront_size: 32
    .workgroup_processor_mode: 1
  - .args:
      - .actual_access:  read_only
        .address_space:  global
        .offset:         0
        .size:           8
        .value_kind:     global_buffer
      - .actual_access:  read_only
        .address_space:  global
        .offset:         8
        .size:           8
        .value_kind:     global_buffer
      - .actual_access:  write_only
        .address_space:  global
        .offset:         16
        .size:           8
        .value_kind:     global_buffer
      - .offset:         24
        .size:           8
        .value_kind:     by_value
      - .offset:         32
        .size:           8
        .value_kind:     by_value
      - .offset:         40
        .size:           12
        .value_kind:     by_value
      - .offset:         56
        .size:           8
        .value_kind:     by_value
      - .offset:         64
        .size:           8
        .value_kind:     by_value
      - .offset:         72
        .size:           8
        .value_kind:     by_value
      - .offset:         80
        .size:           8
        .value_kind:     by_value
      - .offset:         88
        .size:           8
        .value_kind:     by_value
      - .offset:         96
        .size:           8
        .value_kind:     by_value
      - .offset:         104
        .size:           8
        .value_kind:     by_value
      - .offset:         112
        .size:           8
        .value_kind:     by_value
      - .offset:         120
        .size:           8
        .value_kind:     by_value
      - .offset:         128
        .size:           4
        .value_kind:     hidden_block_count_x
      - .offset:         132
        .size:           4
        .value_kind:     hidden_block_count_y
      - .offset:         136
        .size:           4
        .value_kind:     hidden_block_count_z
      - .offset:         140
        .size:           2
        .value_kind:     hidden_group_size_x
      - .offset:         142
        .size:           2
        .value_kind:     hidden_group_size_y
      - .offset:         144
        .size:           2
        .value_kind:     hidden_group_size_z
      - .offset:         146
        .size:           2
        .value_kind:     hidden_remainder_x
      - .offset:         148
        .size:           2
        .value_kind:     hidden_remainder_y
      - .offset:         150
        .size:           2
        .value_kind:     hidden_remainder_z
      - .offset:         168
        .size:           8
        .value_kind:     hidden_global_offset_x
      - .offset:         176
        .size:           8
        .value_kind:     hidden_global_offset_y
      - .offset:         184
        .size:           8
        .value_kind:     hidden_global_offset_z
      - .offset:         192
        .size:           2
        .value_kind:     hidden_grid_dims
    .group_segment_fixed_size: 0
    .kernarg_segment_align: 8
    .kernarg_segment_size: 384
    .language:       OpenCL C
    .language_version:
      - 2
      - 0
    .max_flat_workgroup_size: 1024
    .name:           _ZL10k_get_rowsILi32ELi2EXadL_ZL15dequantize_q5_1PKvliR15HIP_vector_typeIfLj2EEEEiEvS1_PKiPT2_llS2_IjLj3EEmmmmmmmmm
    .private_segment_fixed_size: 0
    .sgpr_count:     57
    .sgpr_spill_count: 0
    .symbol:         _ZL10k_get_rowsILi32ELi2EXadL_ZL15dequantize_q5_1PKvliR15HIP_vector_typeIfLj2EEEEiEvS1_PKiPT2_llS2_IjLj3EEmmmmmmmmm.kd
    .uniform_work_group_size: 1
    .uses_dynamic_stack: false
    .vgpr_count:     16
    .vgpr_spill_count: 0
    .wavefront_size: 32
    .workgroup_processor_mode: 1
  - .args:
      - .actual_access:  read_only
        .address_space:  global
        .offset:         0
        .size:           8
        .value_kind:     global_buffer
      - .actual_access:  read_only
        .address_space:  global
        .offset:         8
        .size:           8
        .value_kind:     global_buffer
      - .actual_access:  write_only
        .address_space:  global
        .offset:         16
        .size:           8
        .value_kind:     global_buffer
      - .offset:         24
        .size:           8
        .value_kind:     by_value
      - .offset:         32
        .size:           8
        .value_kind:     by_value
      - .offset:         40
        .size:           12
        .value_kind:     by_value
      - .offset:         56
        .size:           8
        .value_kind:     by_value
      - .offset:         64
        .size:           8
        .value_kind:     by_value
      - .offset:         72
        .size:           8
        .value_kind:     by_value
      - .offset:         80
        .size:           8
        .value_kind:     by_value
      - .offset:         88
        .size:           8
        .value_kind:     by_value
      - .offset:         96
        .size:           8
        .value_kind:     by_value
      - .offset:         104
        .size:           8
        .value_kind:     by_value
      - .offset:         112
        .size:           8
        .value_kind:     by_value
      - .offset:         120
        .size:           8
        .value_kind:     by_value
      - .offset:         128
        .size:           4
        .value_kind:     hidden_block_count_x
      - .offset:         132
        .size:           4
        .value_kind:     hidden_block_count_y
      - .offset:         136
        .size:           4
        .value_kind:     hidden_block_count_z
      - .offset:         140
        .size:           2
        .value_kind:     hidden_group_size_x
      - .offset:         142
        .size:           2
        .value_kind:     hidden_group_size_y
      - .offset:         144
        .size:           2
        .value_kind:     hidden_group_size_z
      - .offset:         146
        .size:           2
        .value_kind:     hidden_remainder_x
      - .offset:         148
        .size:           2
        .value_kind:     hidden_remainder_y
      - .offset:         150
        .size:           2
        .value_kind:     hidden_remainder_z
      - .offset:         168
        .size:           8
        .value_kind:     hidden_global_offset_x
      - .offset:         176
        .size:           8
        .value_kind:     hidden_global_offset_y
      - .offset:         184
        .size:           8
        .value_kind:     hidden_global_offset_z
      - .offset:         192
        .size:           2
        .value_kind:     hidden_grid_dims
    .group_segment_fixed_size: 0
    .kernarg_segment_align: 8
    .kernarg_segment_size: 384
    .language:       OpenCL C
    .language_version:
      - 2
      - 0
    .max_flat_workgroup_size: 1024
    .name:           _ZL10k_get_rowsILi32ELi1EXadL_ZL15dequantize_q8_0PKvliR15HIP_vector_typeIfLj2EEEEiEvS1_PKiPT2_llS2_IjLj3EEmmmmmmmmm
    .private_segment_fixed_size: 0
    .sgpr_count:     57
    .sgpr_spill_count: 0
    .symbol:         _ZL10k_get_rowsILi32ELi1EXadL_ZL15dequantize_q8_0PKvliR15HIP_vector_typeIfLj2EEEEiEvS1_PKiPT2_llS2_IjLj3EEmmmmmmmmm.kd
    .uniform_work_group_size: 1
    .uses_dynamic_stack: false
    .vgpr_count:     18
    .vgpr_spill_count: 0
    .wavefront_size: 32
    .workgroup_processor_mode: 1
  - .args:
      - .address_space:  global
        .offset:         0
        .size:           8
        .value_kind:     global_buffer
      - .address_space:  global
        .offset:         8
        .size:           8
        .value_kind:     global_buffer
      - .address_space:  global
        .offset:         16
        .size:           8
        .value_kind:     global_buffer
      - .offset:         24
        .size:           8
        .value_kind:     by_value
      - .offset:         32
        .size:           8
        .value_kind:     by_value
      - .offset:         40
        .size:           12
        .value_kind:     by_value
      - .offset:         56
        .size:           8
        .value_kind:     by_value
      - .offset:         64
        .size:           8
        .value_kind:     by_value
      - .offset:         72
        .size:           8
        .value_kind:     by_value
      - .offset:         80
        .size:           8
        .value_kind:     by_value
      - .offset:         88
        .size:           8
        .value_kind:     by_value
      - .offset:         96
        .size:           8
        .value_kind:     by_value
      - .offset:         104
        .size:           8
        .value_kind:     by_value
      - .offset:         112
        .size:           8
        .value_kind:     by_value
      - .offset:         120
        .size:           8
        .value_kind:     by_value
      - .offset:         128
        .size:           4
        .value_kind:     hidden_block_count_x
      - .offset:         132
        .size:           4
        .value_kind:     hidden_block_count_y
      - .offset:         136
        .size:           4
        .value_kind:     hidden_block_count_z
      - .offset:         140
        .size:           2
        .value_kind:     hidden_group_size_x
      - .offset:         142
        .size:           2
        .value_kind:     hidden_group_size_y
      - .offset:         144
        .size:           2
        .value_kind:     hidden_group_size_z
      - .offset:         146
        .size:           2
        .value_kind:     hidden_remainder_x
      - .offset:         148
        .size:           2
        .value_kind:     hidden_remainder_y
      - .offset:         150
        .size:           2
        .value_kind:     hidden_remainder_z
      - .offset:         168
        .size:           8
        .value_kind:     hidden_global_offset_x
      - .offset:         176
        .size:           8
        .value_kind:     hidden_global_offset_y
      - .offset:         184
        .size:           8
        .value_kind:     hidden_global_offset_z
      - .offset:         192
        .size:           2
        .value_kind:     hidden_grid_dims
    .group_segment_fixed_size: 0
    .kernarg_segment_align: 8
    .kernarg_segment_size: 384
    .language:       OpenCL C
    .language_version:
      - 2
      - 0
    .max_flat_workgroup_size: 1024
    .name:           _ZL16k_get_rows_floatI6__halfS0_EvPKT_PKiPT0_ll15HIP_vector_typeIjLj3EEmmmmmmmmm
    .private_segment_fixed_size: 0
    .sgpr_count:     48
    .sgpr_spill_count: 0
    .symbol:         _ZL16k_get_rows_floatI6__halfS0_EvPKT_PKiPT0_ll15HIP_vector_typeIjLj3EEmmmmmmmmm.kd
    .uniform_work_group_size: 1
    .uses_dynamic_stack: false
    .vgpr_count:     16
    .vgpr_spill_count: 0
    .wavefront_size: 32
    .workgroup_processor_mode: 1
  - .args:
      - .address_space:  global
        .offset:         0
        .size:           8
        .value_kind:     global_buffer
      - .address_space:  global
        .offset:         8
        .size:           8
        .value_kind:     global_buffer
      - .address_space:  global
        .offset:         16
        .size:           8
        .value_kind:     global_buffer
      - .offset:         24
        .size:           8
        .value_kind:     by_value
      - .offset:         32
        .size:           8
        .value_kind:     by_value
      - .offset:         40
        .size:           12
        .value_kind:     by_value
      - .offset:         56
        .size:           8
        .value_kind:     by_value
      - .offset:         64
        .size:           8
        .value_kind:     by_value
      - .offset:         72
        .size:           8
        .value_kind:     by_value
      - .offset:         80
        .size:           8
        .value_kind:     by_value
      - .offset:         88
        .size:           8
        .value_kind:     by_value
      - .offset:         96
        .size:           8
        .value_kind:     by_value
      - .offset:         104
        .size:           8
        .value_kind:     by_value
      - .offset:         112
        .size:           8
        .value_kind:     by_value
      - .offset:         120
        .size:           8
        .value_kind:     by_value
      - .offset:         128
        .size:           4
        .value_kind:     hidden_block_count_x
      - .offset:         132
        .size:           4
        .value_kind:     hidden_block_count_y
      - .offset:         136
        .size:           4
        .value_kind:     hidden_block_count_z
      - .offset:         140
        .size:           2
        .value_kind:     hidden_group_size_x
      - .offset:         142
        .size:           2
        .value_kind:     hidden_group_size_y
      - .offset:         144
        .size:           2
        .value_kind:     hidden_group_size_z
      - .offset:         146
        .size:           2
        .value_kind:     hidden_remainder_x
      - .offset:         148
        .size:           2
        .value_kind:     hidden_remainder_y
      - .offset:         150
        .size:           2
        .value_kind:     hidden_remainder_z
      - .offset:         168
        .size:           8
        .value_kind:     hidden_global_offset_x
      - .offset:         176
        .size:           8
        .value_kind:     hidden_global_offset_y
      - .offset:         184
        .size:           8
        .value_kind:     hidden_global_offset_z
      - .offset:         192
        .size:           2
        .value_kind:     hidden_grid_dims
    .group_segment_fixed_size: 0
    .kernarg_segment_align: 8
    .kernarg_segment_size: 384
    .language:       OpenCL C
    .language_version:
      - 2
      - 0
    .max_flat_workgroup_size: 1024
    .name:           _ZL16k_get_rows_floatIf6__halfEvPKT_PKiPT0_ll15HIP_vector_typeIjLj3EEmmmmmmmmm
    .private_segment_fixed_size: 0
    .sgpr_count:     48
    .sgpr_spill_count: 0
    .symbol:         _ZL16k_get_rows_floatIf6__halfEvPKT_PKiPT0_ll15HIP_vector_typeIjLj3EEmmmmmmmmm.kd
    .uniform_work_group_size: 1
    .uses_dynamic_stack: false
    .vgpr_count:     17
    .vgpr_spill_count: 0
    .wavefront_size: 32
    .workgroup_processor_mode: 1
  - .args:
      - .address_space:  global
        .offset:         0
        .size:           8
        .value_kind:     global_buffer
      - .address_space:  global
        .offset:         8
        .size:           8
        .value_kind:     global_buffer
      - .address_space:  global
        .offset:         16
        .size:           8
        .value_kind:     global_buffer
      - .offset:         24
        .size:           8
        .value_kind:     by_value
      - .offset:         32
        .size:           8
        .value_kind:     by_value
      - .offset:         40
        .size:           12
        .value_kind:     by_value
      - .offset:         56
        .size:           8
        .value_kind:     by_value
      - .offset:         64
        .size:           8
        .value_kind:     by_value
      - .offset:         72
        .size:           8
        .value_kind:     by_value
      - .offset:         80
        .size:           8
        .value_kind:     by_value
      - .offset:         88
        .size:           8
        .value_kind:     by_value
      - .offset:         96
        .size:           8
        .value_kind:     by_value
      - .offset:         104
        .size:           8
        .value_kind:     by_value
      - .offset:         112
        .size:           8
        .value_kind:     by_value
      - .offset:         120
        .size:           8
        .value_kind:     by_value
      - .offset:         128
        .size:           4
        .value_kind:     hidden_block_count_x
      - .offset:         132
        .size:           4
        .value_kind:     hidden_block_count_y
      - .offset:         136
        .size:           4
        .value_kind:     hidden_block_count_z
      - .offset:         140
        .size:           2
        .value_kind:     hidden_group_size_x
      - .offset:         142
        .size:           2
        .value_kind:     hidden_group_size_y
      - .offset:         144
        .size:           2
        .value_kind:     hidden_group_size_z
      - .offset:         146
        .size:           2
        .value_kind:     hidden_remainder_x
      - .offset:         148
        .size:           2
        .value_kind:     hidden_remainder_y
      - .offset:         150
        .size:           2
        .value_kind:     hidden_remainder_z
      - .offset:         168
        .size:           8
        .value_kind:     hidden_global_offset_x
      - .offset:         176
        .size:           8
        .value_kind:     hidden_global_offset_y
      - .offset:         184
        .size:           8
        .value_kind:     hidden_global_offset_z
      - .offset:         192
        .size:           2
        .value_kind:     hidden_grid_dims
    .group_segment_fixed_size: 0
    .kernarg_segment_align: 8
    .kernarg_segment_size: 384
    .language:       OpenCL C
    .language_version:
      - 2
      - 0
    .max_flat_workgroup_size: 1024
    .name:           _ZL16k_get_rows_floatIi6__halfEvPKT_PKiPT0_ll15HIP_vector_typeIjLj3EEmmmmmmmmm
    .private_segment_fixed_size: 0
    .sgpr_count:     48
    .sgpr_spill_count: 0
    .symbol:         _ZL16k_get_rows_floatIi6__halfEvPKT_PKiPT0_ll15HIP_vector_typeIjLj3EEmmmmmmmmm.kd
    .uniform_work_group_size: 1
    .uses_dynamic_stack: false
    .vgpr_count:     17
    .vgpr_spill_count: 0
    .wavefront_size: 32
    .workgroup_processor_mode: 1
  - .args:
      - .address_space:  global
        .offset:         0
        .size:           8
        .value_kind:     global_buffer
      - .address_space:  global
        .offset:         8
        .size:           8
        .value_kind:     global_buffer
      - .address_space:  global
        .offset:         16
        .size:           8
        .value_kind:     global_buffer
      - .offset:         24
        .size:           8
        .value_kind:     by_value
      - .offset:         32
        .size:           8
        .value_kind:     by_value
      - .offset:         40
        .size:           12
        .value_kind:     by_value
      - .offset:         56
        .size:           8
        .value_kind:     by_value
      - .offset:         64
        .size:           8
        .value_kind:     by_value
      - .offset:         72
        .size:           8
        .value_kind:     by_value
      - .offset:         80
        .size:           8
        .value_kind:     by_value
      - .offset:         88
        .size:           8
        .value_kind:     by_value
      - .offset:         96
        .size:           8
        .value_kind:     by_value
      - .offset:         104
        .size:           8
        .value_kind:     by_value
      - .offset:         112
        .size:           8
        .value_kind:     by_value
      - .offset:         120
        .size:           8
        .value_kind:     by_value
      - .offset:         128
        .size:           4
        .value_kind:     hidden_block_count_x
      - .offset:         132
        .size:           4
        .value_kind:     hidden_block_count_y
      - .offset:         136
        .size:           4
        .value_kind:     hidden_block_count_z
      - .offset:         140
        .size:           2
        .value_kind:     hidden_group_size_x
      - .offset:         142
        .size:           2
        .value_kind:     hidden_group_size_y
      - .offset:         144
        .size:           2
        .value_kind:     hidden_group_size_z
      - .offset:         146
        .size:           2
        .value_kind:     hidden_remainder_x
      - .offset:         148
        .size:           2
        .value_kind:     hidden_remainder_y
      - .offset:         150
        .size:           2
        .value_kind:     hidden_remainder_z
      - .offset:         168
        .size:           8
        .value_kind:     hidden_global_offset_x
      - .offset:         176
        .size:           8
        .value_kind:     hidden_global_offset_y
      - .offset:         184
        .size:           8
        .value_kind:     hidden_global_offset_z
      - .offset:         192
        .size:           2
        .value_kind:     hidden_grid_dims
    .group_segment_fixed_size: 0
    .kernarg_segment_align: 8
    .kernarg_segment_size: 384
    .language:       OpenCL C
    .language_version:
      - 2
      - 0
    .max_flat_workgroup_size: 1024
    .name:           _ZL16k_get_rows_floatI14__hip_bfloat166__halfEvPKT_PKiPT0_ll15HIP_vector_typeIjLj3EEmmmmmmmmm
    .private_segment_fixed_size: 0
    .sgpr_count:     48
    .sgpr_spill_count: 0
    .symbol:         _ZL16k_get_rows_floatI14__hip_bfloat166__halfEvPKT_PKiPT0_ll15HIP_vector_typeIjLj3EEmmmmmmmmm.kd
    .uniform_work_group_size: 1
    .uses_dynamic_stack: false
    .vgpr_count:     16
    .vgpr_spill_count: 0
    .wavefront_size: 32
    .workgroup_processor_mode: 1
  - .args:
      - .actual_access:  read_only
        .address_space:  global
        .offset:         0
        .size:           8
        .value_kind:     global_buffer
      - .actual_access:  read_only
        .address_space:  global
        .offset:         8
        .size:           8
        .value_kind:     global_buffer
      - .actual_access:  write_only
        .address_space:  global
        .offset:         16
        .size:           8
        .value_kind:     global_buffer
      - .offset:         24
        .size:           8
        .value_kind:     by_value
      - .offset:         32
        .size:           8
        .value_kind:     by_value
      - .offset:         40
        .size:           12
        .value_kind:     by_value
      - .offset:         56
        .size:           8
        .value_kind:     by_value
      - .offset:         64
        .size:           8
        .value_kind:     by_value
      - .offset:         72
        .size:           8
        .value_kind:     by_value
      - .offset:         80
        .size:           8
        .value_kind:     by_value
      - .offset:         88
        .size:           8
        .value_kind:     by_value
      - .offset:         96
        .size:           8
        .value_kind:     by_value
      - .offset:         104
        .size:           8
        .value_kind:     by_value
      - .offset:         112
        .size:           8
        .value_kind:     by_value
      - .offset:         120
        .size:           8
        .value_kind:     by_value
      - .offset:         128
        .size:           4
        .value_kind:     hidden_block_count_x
      - .offset:         132
        .size:           4
        .value_kind:     hidden_block_count_y
      - .offset:         136
        .size:           4
        .value_kind:     hidden_block_count_z
      - .offset:         140
        .size:           2
        .value_kind:     hidden_group_size_x
      - .offset:         142
        .size:           2
        .value_kind:     hidden_group_size_y
      - .offset:         144
        .size:           2
        .value_kind:     hidden_group_size_z
      - .offset:         146
        .size:           2
        .value_kind:     hidden_remainder_x
      - .offset:         148
        .size:           2
        .value_kind:     hidden_remainder_y
      - .offset:         150
        .size:           2
        .value_kind:     hidden_remainder_z
      - .offset:         168
        .size:           8
        .value_kind:     hidden_global_offset_x
      - .offset:         176
        .size:           8
        .value_kind:     hidden_global_offset_y
      - .offset:         184
        .size:           8
        .value_kind:     hidden_global_offset_z
      - .offset:         192
        .size:           2
        .value_kind:     hidden_grid_dims
    .group_segment_fixed_size: 0
    .kernarg_segment_align: 8
    .kernarg_segment_size: 384
    .language:       OpenCL C
    .language_version:
      - 2
      - 0
    .max_flat_workgroup_size: 1024
    .name:           _ZL10k_get_rowsILi128ELi1EXadL_ZL15dequantize_q1_0PKvliR15HIP_vector_typeIfLj2EEEE6__halfEvS1_PKiPT2_llS2_IjLj3EEmmmmmmmmm
    .private_segment_fixed_size: 0
    .sgpr_count:     57
    .sgpr_spill_count: 0
    .symbol:         _ZL10k_get_rowsILi128ELi1EXadL_ZL15dequantize_q1_0PKvliR15HIP_vector_typeIfLj2EEEE6__halfEvS1_PKiPT2_llS2_IjLj3EEmmmmmmmmm.kd
    .uniform_work_group_size: 1
    .uses_dynamic_stack: false
    .vgpr_count:     19
    .vgpr_spill_count: 0
    .wavefront_size: 32
    .workgroup_processor_mode: 1
  - .args:
      - .actual_access:  read_only
        .address_space:  global
        .offset:         0
        .size:           8
        .value_kind:     global_buffer
      - .actual_access:  read_only
        .address_space:  global
        .offset:         8
        .size:           8
        .value_kind:     global_buffer
      - .actual_access:  write_only
        .address_space:  global
        .offset:         16
        .size:           8
        .value_kind:     global_buffer
      - .offset:         24
        .size:           8
        .value_kind:     by_value
      - .offset:         32
        .size:           8
        .value_kind:     by_value
      - .offset:         40
        .size:           12
        .value_kind:     by_value
      - .offset:         56
        .size:           8
        .value_kind:     by_value
      - .offset:         64
        .size:           8
        .value_kind:     by_value
      - .offset:         72
        .size:           8
        .value_kind:     by_value
      - .offset:         80
        .size:           8
        .value_kind:     by_value
      - .offset:         88
        .size:           8
        .value_kind:     by_value
      - .offset:         96
        .size:           8
        .value_kind:     by_value
      - .offset:         104
        .size:           8
        .value_kind:     by_value
      - .offset:         112
        .size:           8
        .value_kind:     by_value
      - .offset:         120
        .size:           8
        .value_kind:     by_value
      - .offset:         128
        .size:           4
        .value_kind:     hidden_block_count_x
      - .offset:         132
        .size:           4
        .value_kind:     hidden_block_count_y
      - .offset:         136
        .size:           4
        .value_kind:     hidden_block_count_z
      - .offset:         140
        .size:           2
        .value_kind:     hidden_group_size_x
      - .offset:         142
        .size:           2
        .value_kind:     hidden_group_size_y
      - .offset:         144
        .size:           2
        .value_kind:     hidden_group_size_z
      - .offset:         146
        .size:           2
        .value_kind:     hidden_remainder_x
      - .offset:         148
        .size:           2
        .value_kind:     hidden_remainder_y
      - .offset:         150
        .size:           2
        .value_kind:     hidden_remainder_z
      - .offset:         168
        .size:           8
        .value_kind:     hidden_global_offset_x
      - .offset:         176
        .size:           8
        .value_kind:     hidden_global_offset_y
      - .offset:         184
        .size:           8
        .value_kind:     hidden_global_offset_z
      - .offset:         192
        .size:           2
        .value_kind:     hidden_grid_dims
    .group_segment_fixed_size: 0
    .kernarg_segment_align: 8
    .kernarg_segment_size: 384
    .language:       OpenCL C
    .language_version:
      - 2
      - 0
    .max_flat_workgroup_size: 1024
    .name:           _ZL10k_get_rowsILi32ELi2EXadL_ZL15dequantize_q4_0PKvliR15HIP_vector_typeIfLj2EEEE6__halfEvS1_PKiPT2_llS2_IjLj3EEmmmmmmmmm
    .private_segment_fixed_size: 0
    .sgpr_count:     57
    .sgpr_spill_count: 0
    .symbol:         _ZL10k_get_rowsILi32ELi2EXadL_ZL15dequantize_q4_0PKvliR15HIP_vector_typeIfLj2EEEE6__halfEvS1_PKiPT2_llS2_IjLj3EEmmmmmmmmm.kd
    .uniform_work_group_size: 1
    .uses_dynamic_stack: false
    .vgpr_count:     14
    .vgpr_spill_count: 0
    .wavefront_size: 32
    .workgroup_processor_mode: 1
  - .args:
      - .actual_access:  read_only
        .address_space:  global
        .offset:         0
        .size:           8
        .value_kind:     global_buffer
      - .actual_access:  read_only
        .address_space:  global
        .offset:         8
        .size:           8
        .value_kind:     global_buffer
      - .actual_access:  write_only
        .address_space:  global
        .offset:         16
        .size:           8
        .value_kind:     global_buffer
      - .offset:         24
        .size:           8
        .value_kind:     by_value
      - .offset:         32
        .size:           8
        .value_kind:     by_value
      - .offset:         40
        .size:           12
        .value_kind:     by_value
      - .offset:         56
        .size:           8
        .value_kind:     by_value
      - .offset:         64
        .size:           8
        .value_kind:     by_value
      - .offset:         72
        .size:           8
        .value_kind:     by_value
      - .offset:         80
        .size:           8
        .value_kind:     by_value
      - .offset:         88
        .size:           8
        .value_kind:     by_value
      - .offset:         96
        .size:           8
        .value_kind:     by_value
      - .offset:         104
        .size:           8
        .value_kind:     by_value
      - .offset:         112
        .size:           8
        .value_kind:     by_value
      - .offset:         120
        .size:           8
        .value_kind:     by_value
      - .offset:         128
        .size:           4
        .value_kind:     hidden_block_count_x
      - .offset:         132
        .size:           4
        .value_kind:     hidden_block_count_y
      - .offset:         136
        .size:           4
        .value_kind:     hidden_block_count_z
      - .offset:         140
        .size:           2
        .value_kind:     hidden_group_size_x
      - .offset:         142
        .size:           2
        .value_kind:     hidden_group_size_y
      - .offset:         144
        .size:           2
        .value_kind:     hidden_group_size_z
      - .offset:         146
        .size:           2
        .value_kind:     hidden_remainder_x
      - .offset:         148
        .size:           2
        .value_kind:     hidden_remainder_y
      - .offset:         150
        .size:           2
        .value_kind:     hidden_remainder_z
      - .offset:         168
        .size:           8
        .value_kind:     hidden_global_offset_x
      - .offset:         176
        .size:           8
        .value_kind:     hidden_global_offset_y
      - .offset:         184
        .size:           8
        .value_kind:     hidden_global_offset_z
      - .offset:         192
        .size:           2
        .value_kind:     hidden_grid_dims
    .group_segment_fixed_size: 0
    .kernarg_segment_align: 8
    .kernarg_segment_size: 384
    .language:       OpenCL C
    .language_version:
      - 2
      - 0
    .max_flat_workgroup_size: 1024
    .name:           _ZL10k_get_rowsILi32ELi2EXadL_ZL15dequantize_q4_1PKvliR15HIP_vector_typeIfLj2EEEE6__halfEvS1_PKiPT2_llS2_IjLj3EEmmmmmmmmm
    .private_segment_fixed_size: 0
    .sgpr_count:     57
    .sgpr_spill_count: 0
    .symbol:         _ZL10k_get_rowsILi32ELi2EXadL_ZL15dequantize_q4_1PKvliR15HIP_vector_typeIfLj2EEEE6__halfEvS1_PKiPT2_llS2_IjLj3EEmmmmmmmmm.kd
    .uniform_work_group_size: 1
    .uses_dynamic_stack: false
    .vgpr_count:     14
    .vgpr_spill_count: 0
    .wavefront_size: 32
    .workgroup_processor_mode: 1
  - .args:
      - .actual_access:  read_only
        .address_space:  global
        .offset:         0
        .size:           8
        .value_kind:     global_buffer
      - .actual_access:  read_only
        .address_space:  global
        .offset:         8
        .size:           8
        .value_kind:     global_buffer
      - .actual_access:  write_only
        .address_space:  global
        .offset:         16
        .size:           8
        .value_kind:     global_buffer
      - .offset:         24
        .size:           8
        .value_kind:     by_value
      - .offset:         32
        .size:           8
        .value_kind:     by_value
      - .offset:         40
        .size:           12
        .value_kind:     by_value
      - .offset:         56
        .size:           8
        .value_kind:     by_value
      - .offset:         64
        .size:           8
        .value_kind:     by_value
      - .offset:         72
        .size:           8
        .value_kind:     by_value
      - .offset:         80
        .size:           8
        .value_kind:     by_value
      - .offset:         88
        .size:           8
        .value_kind:     by_value
      - .offset:         96
        .size:           8
        .value_kind:     by_value
      - .offset:         104
        .size:           8
        .value_kind:     by_value
      - .offset:         112
        .size:           8
        .value_kind:     by_value
      - .offset:         120
        .size:           8
        .value_kind:     by_value
      - .offset:         128
        .size:           4
        .value_kind:     hidden_block_count_x
      - .offset:         132
        .size:           4
        .value_kind:     hidden_block_count_y
      - .offset:         136
        .size:           4
        .value_kind:     hidden_block_count_z
      - .offset:         140
        .size:           2
        .value_kind:     hidden_group_size_x
      - .offset:         142
        .size:           2
        .value_kind:     hidden_group_size_y
      - .offset:         144
        .size:           2
        .value_kind:     hidden_group_size_z
      - .offset:         146
        .size:           2
        .value_kind:     hidden_remainder_x
      - .offset:         148
        .size:           2
        .value_kind:     hidden_remainder_y
      - .offset:         150
        .size:           2
        .value_kind:     hidden_remainder_z
      - .offset:         168
        .size:           8
        .value_kind:     hidden_global_offset_x
      - .offset:         176
        .size:           8
        .value_kind:     hidden_global_offset_y
      - .offset:         184
        .size:           8
        .value_kind:     hidden_global_offset_z
      - .offset:         192
        .size:           2
        .value_kind:     hidden_grid_dims
    .group_segment_fixed_size: 0
    .kernarg_segment_align: 8
    .kernarg_segment_size: 384
    .language:       OpenCL C
    .language_version:
      - 2
      - 0
    .max_flat_workgroup_size: 1024
    .name:           _ZL10k_get_rowsILi32ELi2EXadL_ZL15dequantize_q5_0PKvliR15HIP_vector_typeIfLj2EEEE6__halfEvS1_PKiPT2_llS2_IjLj3EEmmmmmmmmm
    .private_segment_fixed_size: 0
    .sgpr_count:     57
    .sgpr_spill_count: 0
    .symbol:         _ZL10k_get_rowsILi32ELi2EXadL_ZL15dequantize_q5_0PKvliR15HIP_vector_typeIfLj2EEEE6__halfEvS1_PKiPT2_llS2_IjLj3EEmmmmmmmmm.kd
    .uniform_work_group_size: 1
    .uses_dynamic_stack: false
    .vgpr_count:     16
    .vgpr_spill_count: 0
    .wavefront_size: 32
    .workgroup_processor_mode: 1
  - .args:
      - .actual_access:  read_only
        .address_space:  global
        .offset:         0
        .size:           8
        .value_kind:     global_buffer
      - .actual_access:  read_only
        .address_space:  global
        .offset:         8
        .size:           8
        .value_kind:     global_buffer
      - .actual_access:  write_only
        .address_space:  global
        .offset:         16
        .size:           8
        .value_kind:     global_buffer
      - .offset:         24
        .size:           8
        .value_kind:     by_value
      - .offset:         32
        .size:           8
        .value_kind:     by_value
      - .offset:         40
        .size:           12
        .value_kind:     by_value
      - .offset:         56
        .size:           8
        .value_kind:     by_value
      - .offset:         64
        .size:           8
        .value_kind:     by_value
      - .offset:         72
        .size:           8
        .value_kind:     by_value
      - .offset:         80
        .size:           8
        .value_kind:     by_value
      - .offset:         88
        .size:           8
        .value_kind:     by_value
      - .offset:         96
        .size:           8
        .value_kind:     by_value
      - .offset:         104
        .size:           8
        .value_kind:     by_value
      - .offset:         112
        .size:           8
        .value_kind:     by_value
      - .offset:         120
        .size:           8
        .value_kind:     by_value
      - .offset:         128
        .size:           4
        .value_kind:     hidden_block_count_x
      - .offset:         132
        .size:           4
        .value_kind:     hidden_block_count_y
      - .offset:         136
        .size:           4
        .value_kind:     hidden_block_count_z
      - .offset:         140
        .size:           2
        .value_kind:     hidden_group_size_x
      - .offset:         142
        .size:           2
        .value_kind:     hidden_group_size_y
      - .offset:         144
        .size:           2
        .value_kind:     hidden_group_size_z
      - .offset:         146
        .size:           2
        .value_kind:     hidden_remainder_x
      - .offset:         148
        .size:           2
        .value_kind:     hidden_remainder_y
      - .offset:         150
        .size:           2
        .value_kind:     hidden_remainder_z
      - .offset:         168
        .size:           8
        .value_kind:     hidden_global_offset_x
      - .offset:         176
        .size:           8
        .value_kind:     hidden_global_offset_y
      - .offset:         184
        .size:           8
        .value_kind:     hidden_global_offset_z
      - .offset:         192
        .size:           2
        .value_kind:     hidden_grid_dims
    .group_segment_fixed_size: 0
    .kernarg_segment_align: 8
    .kernarg_segment_size: 384
    .language:       OpenCL C
    .language_version:
      - 2
      - 0
    .max_flat_workgroup_size: 1024
    .name:           _ZL10k_get_rowsILi32ELi2EXadL_ZL15dequantize_q5_1PKvliR15HIP_vector_typeIfLj2EEEE6__halfEvS1_PKiPT2_llS2_IjLj3EEmmmmmmmmm
    .private_segment_fixed_size: 0
    .sgpr_count:     57
    .sgpr_spill_count: 0
    .symbol:         _ZL10k_get_rowsILi32ELi2EXadL_ZL15dequantize_q5_1PKvliR15HIP_vector_typeIfLj2EEEE6__halfEvS1_PKiPT2_llS2_IjLj3EEmmmmmmmmm.kd
    .uniform_work_group_size: 1
    .uses_dynamic_stack: false
    .vgpr_count:     16
    .vgpr_spill_count: 0
    .wavefront_size: 32
    .workgroup_processor_mode: 1
  - .args:
      - .actual_access:  read_only
        .address_space:  global
        .offset:         0
        .size:           8
        .value_kind:     global_buffer
      - .actual_access:  read_only
        .address_space:  global
        .offset:         8
        .size:           8
        .value_kind:     global_buffer
      - .actual_access:  write_only
        .address_space:  global
        .offset:         16
        .size:           8
        .value_kind:     global_buffer
      - .offset:         24
        .size:           8
        .value_kind:     by_value
      - .offset:         32
        .size:           8
        .value_kind:     by_value
      - .offset:         40
        .size:           12
        .value_kind:     by_value
      - .offset:         56
        .size:           8
        .value_kind:     by_value
      - .offset:         64
        .size:           8
        .value_kind:     by_value
      - .offset:         72
        .size:           8
        .value_kind:     by_value
      - .offset:         80
        .size:           8
        .value_kind:     by_value
      - .offset:         88
        .size:           8
        .value_kind:     by_value
      - .offset:         96
        .size:           8
        .value_kind:     by_value
      - .offset:         104
        .size:           8
        .value_kind:     by_value
      - .offset:         112
        .size:           8
        .value_kind:     by_value
      - .offset:         120
        .size:           8
        .value_kind:     by_value
      - .offset:         128
        .size:           4
        .value_kind:     hidden_block_count_x
      - .offset:         132
        .size:           4
        .value_kind:     hidden_block_count_y
      - .offset:         136
        .size:           4
        .value_kind:     hidden_block_count_z
      - .offset:         140
        .size:           2
        .value_kind:     hidden_group_size_x
      - .offset:         142
        .size:           2
        .value_kind:     hidden_group_size_y
      - .offset:         144
        .size:           2
        .value_kind:     hidden_group_size_z
      - .offset:         146
        .size:           2
        .value_kind:     hidden_remainder_x
      - .offset:         148
        .size:           2
        .value_kind:     hidden_remainder_y
      - .offset:         150
        .size:           2
        .value_kind:     hidden_remainder_z
      - .offset:         168
        .size:           8
        .value_kind:     hidden_global_offset_x
      - .offset:         176
        .size:           8
        .value_kind:     hidden_global_offset_y
      - .offset:         184
        .size:           8
        .value_kind:     hidden_global_offset_z
      - .offset:         192
        .size:           2
        .value_kind:     hidden_grid_dims
    .group_segment_fixed_size: 0
    .kernarg_segment_align: 8
    .kernarg_segment_size: 384
    .language:       OpenCL C
    .language_version:
      - 2
      - 0
    .max_flat_workgroup_size: 1024
    .name:           _ZL10k_get_rowsILi32ELi1EXadL_ZL15dequantize_q8_0PKvliR15HIP_vector_typeIfLj2EEEE6__halfEvS1_PKiPT2_llS2_IjLj3EEmmmmmmmmm
    .private_segment_fixed_size: 0
    .sgpr_count:     57
    .sgpr_spill_count: 0
    .symbol:         _ZL10k_get_rowsILi32ELi1EXadL_ZL15dequantize_q8_0PKvliR15HIP_vector_typeIfLj2EEEE6__halfEvS1_PKiPT2_llS2_IjLj3EEmmmmmmmmm.kd
    .uniform_work_group_size: 1
    .uses_dynamic_stack: false
    .vgpr_count:     17
    .vgpr_spill_count: 0
    .wavefront_size: 32
    .workgroup_processor_mode: 1
  - .args:
      - .address_space:  global
        .offset:         0
        .size:           8
        .value_kind:     global_buffer
      - .address_space:  global
        .offset:         8
        .size:           8
        .value_kind:     global_buffer
      - .address_space:  global
        .offset:         16
        .size:           8
        .value_kind:     global_buffer
      - .offset:         24
        .size:           8
        .value_kind:     by_value
      - .offset:         32
        .size:           8
        .value_kind:     by_value
      - .offset:         40
        .size:           12
        .value_kind:     by_value
      - .offset:         56
        .size:           8
        .value_kind:     by_value
      - .offset:         64
        .size:           8
        .value_kind:     by_value
      - .offset:         72
        .size:           8
        .value_kind:     by_value
      - .offset:         80
        .size:           8
        .value_kind:     by_value
      - .offset:         88
        .size:           8
        .value_kind:     by_value
      - .offset:         96
        .size:           8
        .value_kind:     by_value
      - .offset:         104
        .size:           8
        .value_kind:     by_value
      - .offset:         112
        .size:           8
        .value_kind:     by_value
      - .offset:         120
        .size:           8
        .value_kind:     by_value
      - .offset:         128
        .size:           4
        .value_kind:     hidden_block_count_x
      - .offset:         132
        .size:           4
        .value_kind:     hidden_block_count_y
      - .offset:         136
        .size:           4
        .value_kind:     hidden_block_count_z
      - .offset:         140
        .size:           2
        .value_kind:     hidden_group_size_x
      - .offset:         142
        .size:           2
        .value_kind:     hidden_group_size_y
      - .offset:         144
        .size:           2
        .value_kind:     hidden_group_size_z
      - .offset:         146
        .size:           2
        .value_kind:     hidden_remainder_x
      - .offset:         148
        .size:           2
        .value_kind:     hidden_remainder_y
      - .offset:         150
        .size:           2
        .value_kind:     hidden_remainder_z
      - .offset:         168
        .size:           8
        .value_kind:     hidden_global_offset_x
      - .offset:         176
        .size:           8
        .value_kind:     hidden_global_offset_y
      - .offset:         184
        .size:           8
        .value_kind:     hidden_global_offset_z
      - .offset:         192
        .size:           2
        .value_kind:     hidden_grid_dims
    .group_segment_fixed_size: 0
    .kernarg_segment_align: 8
    .kernarg_segment_size: 384
    .language:       OpenCL C
    .language_version:
      - 2
      - 0
    .max_flat_workgroup_size: 1024
    .name:           _ZL16k_get_rows_floatI6__half14__hip_bfloat16EvPKT_PKiPT0_ll15HIP_vector_typeIjLj3EEmmmmmmmmm
    .private_segment_fixed_size: 0
    .sgpr_count:     48
    .sgpr_spill_count: 0
    .symbol:         _ZL16k_get_rows_floatI6__half14__hip_bfloat16EvPKT_PKiPT0_ll15HIP_vector_typeIjLj3EEmmmmmmmmm.kd
    .uniform_work_group_size: 1
    .uses_dynamic_stack: false
    .vgpr_count:     15
    .vgpr_spill_count: 0
    .wavefront_size: 32
    .workgroup_processor_mode: 1
  - .args:
      - .address_space:  global
        .offset:         0
        .size:           8
        .value_kind:     global_buffer
      - .address_space:  global
        .offset:         8
        .size:           8
        .value_kind:     global_buffer
      - .address_space:  global
        .offset:         16
        .size:           8
        .value_kind:     global_buffer
      - .offset:         24
        .size:           8
        .value_kind:     by_value
      - .offset:         32
        .size:           8
        .value_kind:     by_value
      - .offset:         40
        .size:           12
        .value_kind:     by_value
      - .offset:         56
        .size:           8
        .value_kind:     by_value
      - .offset:         64
        .size:           8
        .value_kind:     by_value
      - .offset:         72
        .size:           8
        .value_kind:     by_value
      - .offset:         80
        .size:           8
        .value_kind:     by_value
      - .offset:         88
        .size:           8
        .value_kind:     by_value
      - .offset:         96
        .size:           8
        .value_kind:     by_value
      - .offset:         104
        .size:           8
        .value_kind:     by_value
      - .offset:         112
        .size:           8
        .value_kind:     by_value
      - .offset:         120
        .size:           8
        .value_kind:     by_value
      - .offset:         128
        .size:           4
        .value_kind:     hidden_block_count_x
      - .offset:         132
        .size:           4
        .value_kind:     hidden_block_count_y
      - .offset:         136
        .size:           4
        .value_kind:     hidden_block_count_z
      - .offset:         140
        .size:           2
        .value_kind:     hidden_group_size_x
      - .offset:         142
        .size:           2
        .value_kind:     hidden_group_size_y
      - .offset:         144
        .size:           2
        .value_kind:     hidden_group_size_z
      - .offset:         146
        .size:           2
        .value_kind:     hidden_remainder_x
      - .offset:         148
        .size:           2
        .value_kind:     hidden_remainder_y
      - .offset:         150
        .size:           2
        .value_kind:     hidden_remainder_z
      - .offset:         168
        .size:           8
        .value_kind:     hidden_global_offset_x
      - .offset:         176
        .size:           8
        .value_kind:     hidden_global_offset_y
      - .offset:         184
        .size:           8
        .value_kind:     hidden_global_offset_z
      - .offset:         192
        .size:           2
        .value_kind:     hidden_grid_dims
    .group_segment_fixed_size: 0
    .kernarg_segment_align: 8
    .kernarg_segment_size: 384
    .language:       OpenCL C
    .language_version:
      - 2
      - 0
    .max_flat_workgroup_size: 1024
    .name:           _ZL16k_get_rows_floatIf14__hip_bfloat16EvPKT_PKiPT0_ll15HIP_vector_typeIjLj3EEmmmmmmmmm
    .private_segment_fixed_size: 0
    .sgpr_count:     48
    .sgpr_spill_count: 0
    .symbol:         _ZL16k_get_rows_floatIf14__hip_bfloat16EvPKT_PKiPT0_ll15HIP_vector_typeIjLj3EEmmmmmmmmm.kd
    .uniform_work_group_size: 1
    .uses_dynamic_stack: false
    .vgpr_count:     15
    .vgpr_spill_count: 0
    .wavefront_size: 32
    .workgroup_processor_mode: 1
  - .args:
      - .address_space:  global
        .offset:         0
        .size:           8
        .value_kind:     global_buffer
      - .address_space:  global
        .offset:         8
        .size:           8
        .value_kind:     global_buffer
      - .address_space:  global
        .offset:         16
        .size:           8
        .value_kind:     global_buffer
      - .offset:         24
        .size:           8
        .value_kind:     by_value
      - .offset:         32
        .size:           8
        .value_kind:     by_value
      - .offset:         40
        .size:           12
        .value_kind:     by_value
      - .offset:         56
        .size:           8
        .value_kind:     by_value
      - .offset:         64
        .size:           8
        .value_kind:     by_value
      - .offset:         72
        .size:           8
        .value_kind:     by_value
      - .offset:         80
        .size:           8
        .value_kind:     by_value
      - .offset:         88
        .size:           8
        .value_kind:     by_value
      - .offset:         96
        .size:           8
        .value_kind:     by_value
      - .offset:         104
        .size:           8
        .value_kind:     by_value
      - .offset:         112
        .size:           8
        .value_kind:     by_value
      - .offset:         120
        .size:           8
        .value_kind:     by_value
      - .offset:         128
        .size:           4
        .value_kind:     hidden_block_count_x
      - .offset:         132
        .size:           4
        .value_kind:     hidden_block_count_y
      - .offset:         136
        .size:           4
        .value_kind:     hidden_block_count_z
      - .offset:         140
        .size:           2
        .value_kind:     hidden_group_size_x
      - .offset:         142
        .size:           2
        .value_kind:     hidden_group_size_y
      - .offset:         144
        .size:           2
        .value_kind:     hidden_group_size_z
      - .offset:         146
        .size:           2
        .value_kind:     hidden_remainder_x
      - .offset:         148
        .size:           2
        .value_kind:     hidden_remainder_y
      - .offset:         150
        .size:           2
        .value_kind:     hidden_remainder_z
      - .offset:         168
        .size:           8
        .value_kind:     hidden_global_offset_x
      - .offset:         176
        .size:           8
        .value_kind:     hidden_global_offset_y
      - .offset:         184
        .size:           8
        .value_kind:     hidden_global_offset_z
      - .offset:         192
        .size:           2
        .value_kind:     hidden_grid_dims
    .group_segment_fixed_size: 0
    .kernarg_segment_align: 8
    .kernarg_segment_size: 384
    .language:       OpenCL C
    .language_version:
      - 2
      - 0
    .max_flat_workgroup_size: 1024
    .name:           _ZL16k_get_rows_floatIi14__hip_bfloat16EvPKT_PKiPT0_ll15HIP_vector_typeIjLj3EEmmmmmmmmm
    .private_segment_fixed_size: 0
    .sgpr_count:     48
    .sgpr_spill_count: 0
    .symbol:         _ZL16k_get_rows_floatIi14__hip_bfloat16EvPKT_PKiPT0_ll15HIP_vector_typeIjLj3EEmmmmmmmmm.kd
    .uniform_work_group_size: 1
    .uses_dynamic_stack: false
    .vgpr_count:     15
    .vgpr_spill_count: 0
    .wavefront_size: 32
    .workgroup_processor_mode: 1
  - .args:
      - .address_space:  global
        .offset:         0
        .size:           8
        .value_kind:     global_buffer
      - .address_space:  global
        .offset:         8
        .size:           8
        .value_kind:     global_buffer
      - .address_space:  global
        .offset:         16
        .size:           8
        .value_kind:     global_buffer
      - .offset:         24
        .size:           8
        .value_kind:     by_value
      - .offset:         32
        .size:           8
        .value_kind:     by_value
      - .offset:         40
        .size:           12
        .value_kind:     by_value
      - .offset:         56
        .size:           8
        .value_kind:     by_value
      - .offset:         64
        .size:           8
        .value_kind:     by_value
      - .offset:         72
        .size:           8
        .value_kind:     by_value
      - .offset:         80
        .size:           8
        .value_kind:     by_value
      - .offset:         88
        .size:           8
        .value_kind:     by_value
      - .offset:         96
        .size:           8
        .value_kind:     by_value
      - .offset:         104
        .size:           8
        .value_kind:     by_value
      - .offset:         112
        .size:           8
        .value_kind:     by_value
      - .offset:         120
        .size:           8
        .value_kind:     by_value
      - .offset:         128
        .size:           4
        .value_kind:     hidden_block_count_x
      - .offset:         132
        .size:           4
        .value_kind:     hidden_block_count_y
      - .offset:         136
        .size:           4
        .value_kind:     hidden_block_count_z
      - .offset:         140
        .size:           2
        .value_kind:     hidden_group_size_x
      - .offset:         142
        .size:           2
        .value_kind:     hidden_group_size_y
      - .offset:         144
        .size:           2
        .value_kind:     hidden_group_size_z
      - .offset:         146
        .size:           2
        .value_kind:     hidden_remainder_x
      - .offset:         148
        .size:           2
        .value_kind:     hidden_remainder_y
      - .offset:         150
        .size:           2
        .value_kind:     hidden_remainder_z
      - .offset:         168
        .size:           8
        .value_kind:     hidden_global_offset_x
      - .offset:         176
        .size:           8
        .value_kind:     hidden_global_offset_y
      - .offset:         184
        .size:           8
        .value_kind:     hidden_global_offset_z
      - .offset:         192
        .size:           2
        .value_kind:     hidden_grid_dims
    .group_segment_fixed_size: 0
    .kernarg_segment_align: 8
    .kernarg_segment_size: 384
    .language:       OpenCL C
    .language_version:
      - 2
      - 0
    .max_flat_workgroup_size: 1024
    .name:           _ZL16k_get_rows_floatI14__hip_bfloat16S0_EvPKT_PKiPT0_ll15HIP_vector_typeIjLj3EEmmmmmmmmm
    .private_segment_fixed_size: 0
    .sgpr_count:     48
    .sgpr_spill_count: 0
    .symbol:         _ZL16k_get_rows_floatI14__hip_bfloat16S0_EvPKT_PKiPT0_ll15HIP_vector_typeIjLj3EEmmmmmmmmm.kd
    .uniform_work_group_size: 1
    .uses_dynamic_stack: false
    .vgpr_count:     15
    .vgpr_spill_count: 0
    .wavefront_size: 32
    .workgroup_processor_mode: 1
  - .args:
      - .actual_access:  read_only
        .address_space:  global
        .offset:         0
        .size:           8
        .value_kind:     global_buffer
      - .actual_access:  read_only
        .address_space:  global
        .offset:         8
        .size:           8
        .value_kind:     global_buffer
      - .actual_access:  write_only
        .address_space:  global
        .offset:         16
        .size:           8
        .value_kind:     global_buffer
      - .offset:         24
        .size:           8
        .value_kind:     by_value
      - .offset:         32
        .size:           8
        .value_kind:     by_value
      - .offset:         40
        .size:           12
        .value_kind:     by_value
      - .offset:         56
        .size:           8
        .value_kind:     by_value
      - .offset:         64
        .size:           8
        .value_kind:     by_value
      - .offset:         72
        .size:           8
        .value_kind:     by_value
      - .offset:         80
        .size:           8
        .value_kind:     by_value
      - .offset:         88
        .size:           8
        .value_kind:     by_value
      - .offset:         96
        .size:           8
        .value_kind:     by_value
      - .offset:         104
        .size:           8
        .value_kind:     by_value
      - .offset:         112
        .size:           8
        .value_kind:     by_value
      - .offset:         120
        .size:           8
        .value_kind:     by_value
      - .offset:         128
        .size:           4
        .value_kind:     hidden_block_count_x
      - .offset:         132
        .size:           4
        .value_kind:     hidden_block_count_y
      - .offset:         136
        .size:           4
        .value_kind:     hidden_block_count_z
      - .offset:         140
        .size:           2
        .value_kind:     hidden_group_size_x
      - .offset:         142
        .size:           2
        .value_kind:     hidden_group_size_y
      - .offset:         144
        .size:           2
        .value_kind:     hidden_group_size_z
      - .offset:         146
        .size:           2
        .value_kind:     hidden_remainder_x
      - .offset:         148
        .size:           2
        .value_kind:     hidden_remainder_y
      - .offset:         150
        .size:           2
        .value_kind:     hidden_remainder_z
      - .offset:         168
        .size:           8
        .value_kind:     hidden_global_offset_x
      - .offset:         176
        .size:           8
        .value_kind:     hidden_global_offset_y
      - .offset:         184
        .size:           8
        .value_kind:     hidden_global_offset_z
      - .offset:         192
        .size:           2
        .value_kind:     hidden_grid_dims
    .group_segment_fixed_size: 0
    .kernarg_segment_align: 8
    .kernarg_segment_size: 384
    .language:       OpenCL C
    .language_version:
      - 2
      - 0
    .max_flat_workgroup_size: 1024
    .name:           _ZL10k_get_rowsILi128ELi1EXadL_ZL15dequantize_q1_0PKvliR15HIP_vector_typeIfLj2EEEE14__hip_bfloat16EvS1_PKiPT2_llS2_IjLj3EEmmmmmmmmm
    .private_segment_fixed_size: 0
    .sgpr_count:     57
    .sgpr_spill_count: 0
    .symbol:         _ZL10k_get_rowsILi128ELi1EXadL_ZL15dequantize_q1_0PKvliR15HIP_vector_typeIfLj2EEEE14__hip_bfloat16EvS1_PKiPT2_llS2_IjLj3EEmmmmmmmmm.kd
    .uniform_work_group_size: 1
    .uses_dynamic_stack: false
    .vgpr_count:     18
    .vgpr_spill_count: 0
    .wavefront_size: 32
    .workgroup_processor_mode: 1
  - .args:
      - .actual_access:  read_only
        .address_space:  global
        .offset:         0
        .size:           8
        .value_kind:     global_buffer
      - .actual_access:  read_only
        .address_space:  global
        .offset:         8
        .size:           8
        .value_kind:     global_buffer
      - .actual_access:  write_only
        .address_space:  global
        .offset:         16
        .size:           8
        .value_kind:     global_buffer
      - .offset:         24
        .size:           8
        .value_kind:     by_value
      - .offset:         32
        .size:           8
        .value_kind:     by_value
      - .offset:         40
        .size:           12
        .value_kind:     by_value
      - .offset:         56
        .size:           8
        .value_kind:     by_value
      - .offset:         64
        .size:           8
        .value_kind:     by_value
      - .offset:         72
        .size:           8
        .value_kind:     by_value
      - .offset:         80
        .size:           8
        .value_kind:     by_value
      - .offset:         88
        .size:           8
        .value_kind:     by_value
      - .offset:         96
        .size:           8
        .value_kind:     by_value
      - .offset:         104
        .size:           8
        .value_kind:     by_value
      - .offset:         112
        .size:           8
        .value_kind:     by_value
      - .offset:         120
        .size:           8
        .value_kind:     by_value
      - .offset:         128
        .size:           4
        .value_kind:     hidden_block_count_x
      - .offset:         132
        .size:           4
        .value_kind:     hidden_block_count_y
      - .offset:         136
        .size:           4
        .value_kind:     hidden_block_count_z
      - .offset:         140
        .size:           2
        .value_kind:     hidden_group_size_x
      - .offset:         142
        .size:           2
        .value_kind:     hidden_group_size_y
      - .offset:         144
        .size:           2
        .value_kind:     hidden_group_size_z
      - .offset:         146
        .size:           2
        .value_kind:     hidden_remainder_x
      - .offset:         148
        .size:           2
        .value_kind:     hidden_remainder_y
      - .offset:         150
        .size:           2
        .value_kind:     hidden_remainder_z
      - .offset:         168
        .size:           8
        .value_kind:     hidden_global_offset_x
      - .offset:         176
        .size:           8
        .value_kind:     hidden_global_offset_y
      - .offset:         184
        .size:           8
        .value_kind:     hidden_global_offset_z
      - .offset:         192
        .size:           2
        .value_kind:     hidden_grid_dims
    .group_segment_fixed_size: 0
    .kernarg_segment_align: 8
    .kernarg_segment_size: 384
    .language:       OpenCL C
    .language_version:
      - 2
      - 0
    .max_flat_workgroup_size: 1024
    .name:           _ZL10k_get_rowsILi32ELi2EXadL_ZL15dequantize_q4_0PKvliR15HIP_vector_typeIfLj2EEEE14__hip_bfloat16EvS1_PKiPT2_llS2_IjLj3EEmmmmmmmmm
    .private_segment_fixed_size: 0
    .sgpr_count:     57
    .sgpr_spill_count: 0
    .symbol:         _ZL10k_get_rowsILi32ELi2EXadL_ZL15dequantize_q4_0PKvliR15HIP_vector_typeIfLj2EEEE14__hip_bfloat16EvS1_PKiPT2_llS2_IjLj3EEmmmmmmmmm.kd
    .uniform_work_group_size: 1
    .uses_dynamic_stack: false
    .vgpr_count:     14
    .vgpr_spill_count: 0
    .wavefront_size: 32
    .workgroup_processor_mode: 1
  - .args:
      - .actual_access:  read_only
        .address_space:  global
        .offset:         0
        .size:           8
        .value_kind:     global_buffer
      - .actual_access:  read_only
        .address_space:  global
        .offset:         8
        .size:           8
        .value_kind:     global_buffer
      - .actual_access:  write_only
        .address_space:  global
        .offset:         16
        .size:           8
        .value_kind:     global_buffer
      - .offset:         24
        .size:           8
        .value_kind:     by_value
      - .offset:         32
        .size:           8
        .value_kind:     by_value
      - .offset:         40
        .size:           12
        .value_kind:     by_value
      - .offset:         56
        .size:           8
        .value_kind:     by_value
      - .offset:         64
        .size:           8
        .value_kind:     by_value
      - .offset:         72
        .size:           8
        .value_kind:     by_value
      - .offset:         80
        .size:           8
        .value_kind:     by_value
      - .offset:         88
        .size:           8
        .value_kind:     by_value
      - .offset:         96
        .size:           8
        .value_kind:     by_value
      - .offset:         104
        .size:           8
        .value_kind:     by_value
      - .offset:         112
        .size:           8
        .value_kind:     by_value
      - .offset:         120
        .size:           8
        .value_kind:     by_value
      - .offset:         128
        .size:           4
        .value_kind:     hidden_block_count_x
      - .offset:         132
        .size:           4
        .value_kind:     hidden_block_count_y
      - .offset:         136
        .size:           4
        .value_kind:     hidden_block_count_z
      - .offset:         140
        .size:           2
        .value_kind:     hidden_group_size_x
      - .offset:         142
        .size:           2
        .value_kind:     hidden_group_size_y
      - .offset:         144
        .size:           2
        .value_kind:     hidden_group_size_z
      - .offset:         146
        .size:           2
        .value_kind:     hidden_remainder_x
      - .offset:         148
        .size:           2
        .value_kind:     hidden_remainder_y
      - .offset:         150
        .size:           2
        .value_kind:     hidden_remainder_z
      - .offset:         168
        .size:           8
        .value_kind:     hidden_global_offset_x
      - .offset:         176
        .size:           8
        .value_kind:     hidden_global_offset_y
      - .offset:         184
        .size:           8
        .value_kind:     hidden_global_offset_z
      - .offset:         192
        .size:           2
        .value_kind:     hidden_grid_dims
    .group_segment_fixed_size: 0
    .kernarg_segment_align: 8
    .kernarg_segment_size: 384
    .language:       OpenCL C
    .language_version:
      - 2
      - 0
    .max_flat_workgroup_size: 1024
    .name:           _ZL10k_get_rowsILi32ELi2EXadL_ZL15dequantize_q4_1PKvliR15HIP_vector_typeIfLj2EEEE14__hip_bfloat16EvS1_PKiPT2_llS2_IjLj3EEmmmmmmmmm
    .private_segment_fixed_size: 0
    .sgpr_count:     57
    .sgpr_spill_count: 0
    .symbol:         _ZL10k_get_rowsILi32ELi2EXadL_ZL15dequantize_q4_1PKvliR15HIP_vector_typeIfLj2EEEE14__hip_bfloat16EvS1_PKiPT2_llS2_IjLj3EEmmmmmmmmm.kd
    .uniform_work_group_size: 1
    .uses_dynamic_stack: false
    .vgpr_count:     15
    .vgpr_spill_count: 0
    .wavefront_size: 32
    .workgroup_processor_mode: 1
  - .args:
      - .actual_access:  read_only
        .address_space:  global
        .offset:         0
        .size:           8
        .value_kind:     global_buffer
      - .actual_access:  read_only
        .address_space:  global
        .offset:         8
        .size:           8
        .value_kind:     global_buffer
      - .actual_access:  write_only
        .address_space:  global
        .offset:         16
        .size:           8
        .value_kind:     global_buffer
      - .offset:         24
        .size:           8
        .value_kind:     by_value
      - .offset:         32
        .size:           8
        .value_kind:     by_value
      - .offset:         40
        .size:           12
        .value_kind:     by_value
      - .offset:         56
        .size:           8
        .value_kind:     by_value
      - .offset:         64
        .size:           8
        .value_kind:     by_value
      - .offset:         72
        .size:           8
        .value_kind:     by_value
      - .offset:         80
        .size:           8
        .value_kind:     by_value
      - .offset:         88
        .size:           8
        .value_kind:     by_value
      - .offset:         96
        .size:           8
        .value_kind:     by_value
      - .offset:         104
        .size:           8
        .value_kind:     by_value
      - .offset:         112
        .size:           8
        .value_kind:     by_value
      - .offset:         120
        .size:           8
        .value_kind:     by_value
      - .offset:         128
        .size:           4
        .value_kind:     hidden_block_count_x
      - .offset:         132
        .size:           4
        .value_kind:     hidden_block_count_y
      - .offset:         136
        .size:           4
        .value_kind:     hidden_block_count_z
      - .offset:         140
        .size:           2
        .value_kind:     hidden_group_size_x
      - .offset:         142
        .size:           2
        .value_kind:     hidden_group_size_y
      - .offset:         144
        .size:           2
        .value_kind:     hidden_group_size_z
      - .offset:         146
        .size:           2
        .value_kind:     hidden_remainder_x
      - .offset:         148
        .size:           2
        .value_kind:     hidden_remainder_y
      - .offset:         150
        .size:           2
        .value_kind:     hidden_remainder_z
      - .offset:         168
        .size:           8
        .value_kind:     hidden_global_offset_x
      - .offset:         176
        .size:           8
        .value_kind:     hidden_global_offset_y
      - .offset:         184
        .size:           8
        .value_kind:     hidden_global_offset_z
      - .offset:         192
        .size:           2
        .value_kind:     hidden_grid_dims
    .group_segment_fixed_size: 0
    .kernarg_segment_align: 8
    .kernarg_segment_size: 384
    .language:       OpenCL C
    .language_version:
      - 2
      - 0
    .max_flat_workgroup_size: 1024
    .name:           _ZL10k_get_rowsILi32ELi2EXadL_ZL15dequantize_q5_0PKvliR15HIP_vector_typeIfLj2EEEE14__hip_bfloat16EvS1_PKiPT2_llS2_IjLj3EEmmmmmmmmm
    .private_segment_fixed_size: 0
    .sgpr_count:     57
    .sgpr_spill_count: 0
    .symbol:         _ZL10k_get_rowsILi32ELi2EXadL_ZL15dequantize_q5_0PKvliR15HIP_vector_typeIfLj2EEEE14__hip_bfloat16EvS1_PKiPT2_llS2_IjLj3EEmmmmmmmmm.kd
    .uniform_work_group_size: 1
    .uses_dynamic_stack: false
    .vgpr_count:     15
    .vgpr_spill_count: 0
    .wavefront_size: 32
    .workgroup_processor_mode: 1
  - .args:
      - .actual_access:  read_only
        .address_space:  global
        .offset:         0
        .size:           8
        .value_kind:     global_buffer
      - .actual_access:  read_only
        .address_space:  global
        .offset:         8
        .size:           8
        .value_kind:     global_buffer
      - .actual_access:  write_only
        .address_space:  global
        .offset:         16
        .size:           8
        .value_kind:     global_buffer
      - .offset:         24
        .size:           8
        .value_kind:     by_value
      - .offset:         32
        .size:           8
        .value_kind:     by_value
      - .offset:         40
        .size:           12
        .value_kind:     by_value
      - .offset:         56
        .size:           8
        .value_kind:     by_value
      - .offset:         64
        .size:           8
        .value_kind:     by_value
      - .offset:         72
        .size:           8
        .value_kind:     by_value
      - .offset:         80
        .size:           8
        .value_kind:     by_value
      - .offset:         88
        .size:           8
        .value_kind:     by_value
      - .offset:         96
        .size:           8
        .value_kind:     by_value
      - .offset:         104
        .size:           8
        .value_kind:     by_value
      - .offset:         112
        .size:           8
        .value_kind:     by_value
      - .offset:         120
        .size:           8
        .value_kind:     by_value
      - .offset:         128
        .size:           4
        .value_kind:     hidden_block_count_x
      - .offset:         132
        .size:           4
        .value_kind:     hidden_block_count_y
      - .offset:         136
        .size:           4
        .value_kind:     hidden_block_count_z
      - .offset:         140
        .size:           2
        .value_kind:     hidden_group_size_x
      - .offset:         142
        .size:           2
        .value_kind:     hidden_group_size_y
      - .offset:         144
        .size:           2
        .value_kind:     hidden_group_size_z
      - .offset:         146
        .size:           2
        .value_kind:     hidden_remainder_x
      - .offset:         148
        .size:           2
        .value_kind:     hidden_remainder_y
      - .offset:         150
        .size:           2
        .value_kind:     hidden_remainder_z
      - .offset:         168
        .size:           8
        .value_kind:     hidden_global_offset_x
      - .offset:         176
        .size:           8
        .value_kind:     hidden_global_offset_y
      - .offset:         184
        .size:           8
        .value_kind:     hidden_global_offset_z
      - .offset:         192
        .size:           2
        .value_kind:     hidden_grid_dims
    .group_segment_fixed_size: 0
    .kernarg_segment_align: 8
    .kernarg_segment_size: 384
    .language:       OpenCL C
    .language_version:
      - 2
      - 0
    .max_flat_workgroup_size: 1024
    .name:           _ZL10k_get_rowsILi32ELi2EXadL_ZL15dequantize_q5_1PKvliR15HIP_vector_typeIfLj2EEEE14__hip_bfloat16EvS1_PKiPT2_llS2_IjLj3EEmmmmmmmmm
    .private_segment_fixed_size: 0
    .sgpr_count:     57
    .sgpr_spill_count: 0
    .symbol:         _ZL10k_get_rowsILi32ELi2EXadL_ZL15dequantize_q5_1PKvliR15HIP_vector_typeIfLj2EEEE14__hip_bfloat16EvS1_PKiPT2_llS2_IjLj3EEmmmmmmmmm.kd
    .uniform_work_group_size: 1
    .uses_dynamic_stack: false
    .vgpr_count:     15
    .vgpr_spill_count: 0
    .wavefront_size: 32
    .workgroup_processor_mode: 1
  - .args:
      - .actual_access:  read_only
        .address_space:  global
        .offset:         0
        .size:           8
        .value_kind:     global_buffer
      - .actual_access:  read_only
        .address_space:  global
        .offset:         8
        .size:           8
        .value_kind:     global_buffer
      - .actual_access:  write_only
        .address_space:  global
        .offset:         16
        .size:           8
        .value_kind:     global_buffer
      - .offset:         24
        .size:           8
        .value_kind:     by_value
      - .offset:         32
        .size:           8
        .value_kind:     by_value
      - .offset:         40
        .size:           12
        .value_kind:     by_value
      - .offset:         56
        .size:           8
        .value_kind:     by_value
      - .offset:         64
        .size:           8
        .value_kind:     by_value
      - .offset:         72
        .size:           8
        .value_kind:     by_value
      - .offset:         80
        .size:           8
        .value_kind:     by_value
      - .offset:         88
        .size:           8
        .value_kind:     by_value
      - .offset:         96
        .size:           8
        .value_kind:     by_value
      - .offset:         104
        .size:           8
        .value_kind:     by_value
      - .offset:         112
        .size:           8
        .value_kind:     by_value
      - .offset:         120
        .size:           8
        .value_kind:     by_value
      - .offset:         128
        .size:           4
        .value_kind:     hidden_block_count_x
      - .offset:         132
        .size:           4
        .value_kind:     hidden_block_count_y
      - .offset:         136
        .size:           4
        .value_kind:     hidden_block_count_z
      - .offset:         140
        .size:           2
        .value_kind:     hidden_group_size_x
      - .offset:         142
        .size:           2
        .value_kind:     hidden_group_size_y
      - .offset:         144
        .size:           2
        .value_kind:     hidden_group_size_z
      - .offset:         146
        .size:           2
        .value_kind:     hidden_remainder_x
      - .offset:         148
        .size:           2
        .value_kind:     hidden_remainder_y
      - .offset:         150
        .size:           2
        .value_kind:     hidden_remainder_z
      - .offset:         168
        .size:           8
        .value_kind:     hidden_global_offset_x
      - .offset:         176
        .size:           8
        .value_kind:     hidden_global_offset_y
      - .offset:         184
        .size:           8
        .value_kind:     hidden_global_offset_z
      - .offset:         192
        .size:           2
        .value_kind:     hidden_grid_dims
    .group_segment_fixed_size: 0
    .kernarg_segment_align: 8
    .kernarg_segment_size: 384
    .language:       OpenCL C
    .language_version:
      - 2
      - 0
    .max_flat_workgroup_size: 1024
    .name:           _ZL10k_get_rowsILi32ELi1EXadL_ZL15dequantize_q8_0PKvliR15HIP_vector_typeIfLj2EEEE14__hip_bfloat16EvS1_PKiPT2_llS2_IjLj3EEmmmmmmmmm
    .private_segment_fixed_size: 0
    .sgpr_count:     57
    .sgpr_spill_count: 0
    .symbol:         _ZL10k_get_rowsILi32ELi1EXadL_ZL15dequantize_q8_0PKvliR15HIP_vector_typeIfLj2EEEE14__hip_bfloat16EvS1_PKiPT2_llS2_IjLj3EEmmmmmmmmm.kd
    .uniform_work_group_size: 1
    .uses_dynamic_stack: false
    .vgpr_count:     17
    .vgpr_spill_count: 0
    .wavefront_size: 32
    .workgroup_processor_mode: 1
  - .args:
      - .actual_access:  read_only
        .address_space:  global
        .offset:         0
        .size:           8
        .value_kind:     global_buffer
      - .actual_access:  read_only
        .address_space:  global
        .offset:         8
        .size:           8
        .value_kind:     global_buffer
      - .actual_access:  write_only
        .address_space:  global
        .offset:         16
        .size:           8
        .value_kind:     global_buffer
      - .offset:         24
        .size:           8
        .value_kind:     by_value
      - .offset:         32
        .size:           8
        .value_kind:     by_value
      - .offset:         40
        .size:           4
        .value_kind:     hidden_block_count_x
      - .offset:         44
        .size:           4
        .value_kind:     hidden_block_count_y
      - .offset:         48
        .size:           4
        .value_kind:     hidden_block_count_z
      - .offset:         52
        .size:           2
        .value_kind:     hidden_group_size_x
      - .offset:         54
        .size:           2
        .value_kind:     hidden_group_size_y
      - .offset:         56
        .size:           2
        .value_kind:     hidden_group_size_z
      - .offset:         58
        .size:           2
        .value_kind:     hidden_remainder_x
      - .offset:         60
        .size:           2
        .value_kind:     hidden_remainder_y
      - .offset:         62
        .size:           2
        .value_kind:     hidden_remainder_z
      - .offset:         80
        .size:           8
        .value_kind:     hidden_global_offset_x
      - .offset:         88
        .size:           8
        .value_kind:     hidden_global_offset_y
      - .offset:         96
        .size:           8
        .value_kind:     hidden_global_offset_z
      - .offset:         104
        .size:           2
        .value_kind:     hidden_grid_dims
    .group_segment_fixed_size: 0
    .kernarg_segment_align: 8
    .kernarg_segment_size: 296
    .language:       OpenCL C
    .language_version:
      - 2
      - 0
    .max_flat_workgroup_size: 1024
    .name:           _ZL21k_get_rows_back_floatIffEvPKT_PKiPT0_ll
    .private_segment_fixed_size: 0
    .sgpr_count:     18
    .sgpr_spill_count: 0
    .symbol:         _ZL21k_get_rows_back_floatIffEvPKT_PKiPT0_ll.kd
    .uniform_work_group_size: 1
    .uses_dynamic_stack: false
    .vgpr_count:     8
    .vgpr_spill_count: 0
    .wavefront_size: 32
    .workgroup_processor_mode: 1
amdhsa.target:   amdgcn-amd-amdhsa--gfx1100
amdhsa.version:
  - 1
  - 2
...

	.end_amdgpu_metadata
